;; amdgpu-corpus repo=ROCm/rocFFT kind=compiled arch=gfx1030 opt=O3
	.text
	.amdgcn_target "amdgcn-amd-amdhsa--gfx1030"
	.amdhsa_code_object_version 6
	.protected	bluestein_single_fwd_len4000_dim1_half_op_CI_CI ; -- Begin function bluestein_single_fwd_len4000_dim1_half_op_CI_CI
	.globl	bluestein_single_fwd_len4000_dim1_half_op_CI_CI
	.p2align	8
	.type	bluestein_single_fwd_len4000_dim1_half_op_CI_CI,@function
bluestein_single_fwd_len4000_dim1_half_op_CI_CI: ; @bluestein_single_fwd_len4000_dim1_half_op_CI_CI
; %bb.0:
	s_load_dwordx4 s[16:19], s[4:5], 0x28
	v_mul_u32_u24_e32 v1, 0x148, v0
	v_mov_b32_e32 v48, 0
	s_mov_b32 s0, exec_lo
	v_lshrrev_b32_e32 v1, 16, v1
	v_add_nc_u32_e32 v47, s6, v1
	s_waitcnt lgkmcnt(0)
	v_cmpx_gt_u64_e64 s[16:17], v[47:48]
	s_cbranch_execz .LBB0_2
; %bb.1:
	s_clause 0x1
	s_load_dwordx4 s[8:11], s[4:5], 0x18
	s_load_dwordx4 s[0:3], s[4:5], 0x0
	v_mul_lo_u16 v1, 0xc8, v1
	v_mov_b32_e32 v94, 2
	s_load_dwordx2 s[4:5], s[4:5], 0x38
	v_sub_nc_u16 v46, v0, v1
	v_and_b32_e32 v77, 0xffff, v46
	v_lshlrev_b32_e32 v83, 2, v77
	s_waitcnt lgkmcnt(0)
	s_load_dwordx4 s[12:15], s[8:9], 0x0
	v_add_co_u32 v54, s6, s0, v83
	v_add_co_ci_u32_e64 v55, null, s1, 0, s6
	s_clause 0x1
	global_load_dword v82, v83, s[0:1]
	global_load_dword v81, v83, s[0:1] offset:1600
	v_add_co_u32 v4, vcc_lo, 0x800, v54
	v_add_co_ci_u32_e32 v5, vcc_lo, 0, v55, vcc_lo
	v_add_nc_u32_e32 v85, 0xc00, v83
	v_add_nc_u32_e32 v84, 0x1200, v83
	;; [unrolled: 1-line block ×8, first 2 shown]
	s_waitcnt lgkmcnt(0)
	v_mad_u64_u32 v[0:1], null, s14, v47, 0
	v_mad_u64_u32 v[2:3], null, s12, v77, 0
	s_mul_i32 s7, s13, 0x640
	s_mul_hi_u32 s8, s12, 0x640
	s_mul_i32 s6, s12, 0x640
	s_add_i32 s7, s8, s7
	s_mul_i32 s8, s13, 0xffffcae0
	v_add_nc_u32_e32 v80, 0x1f00, v83
	v_mad_u64_u32 v[6:7], null, s15, v47, v[1:2]
	v_mad_u64_u32 v[9:10], null, s13, v77, v[3:4]
	v_add_co_u32 v7, vcc_lo, 0x1000, v54
	v_add_co_ci_u32_e32 v8, vcc_lo, 0, v55, vcc_lo
	v_mov_b32_e32 v1, v6
	v_add_co_u32 v10, vcc_lo, 0x1800, v54
	v_add_co_ci_u32_e32 v11, vcc_lo, 0, v55, vcc_lo
	v_add_co_u32 v12, vcc_lo, 0x2000, v54
	v_mov_b32_e32 v3, v9
	v_lshlrev_b64 v[0:1], 2, v[0:1]
	v_add_co_ci_u32_e32 v13, vcc_lo, 0, v55, vcc_lo
	v_add_co_u32 v14, vcc_lo, 0x2800, v54
	v_add_co_ci_u32_e32 v15, vcc_lo, 0, v55, vcc_lo
	v_lshlrev_b64 v[2:3], 2, v[2:3]
	v_add_co_u32 v0, vcc_lo, s18, v0
	v_add_co_ci_u32_e32 v1, vcc_lo, s19, v1, vcc_lo
	s_sub_i32 s8, s8, s12
	v_add_co_u32 v0, vcc_lo, v0, v2
	v_add_co_ci_u32_e32 v1, vcc_lo, v1, v3, vcc_lo
	v_add_co_u32 v2, vcc_lo, v0, s6
	v_add_co_ci_u32_e32 v3, vcc_lo, s7, v1, vcc_lo
	s_clause 0x1
	global_load_dword v6, v[0:1], off
	global_load_dword v9, v[2:3], off
	v_add_co_u32 v0, vcc_lo, v2, s6
	v_add_co_ci_u32_e32 v1, vcc_lo, s7, v3, vcc_lo
	v_add_co_u32 v2, vcc_lo, v0, s6
	v_add_co_ci_u32_e32 v3, vcc_lo, s7, v1, vcc_lo
	;; [unrolled: 2-line block ×3, first 2 shown]
	global_load_dword v18, v[0:1], off
	global_load_dword v79, v[4:5], off offset:1152
	global_load_dword v19, v[2:3], off
	v_add_co_u32 v0, vcc_lo, v2, s6
	v_add_co_ci_u32_e32 v1, vcc_lo, s7, v3, vcc_lo
	global_load_dword v76, v[7:8], off offset:704
	v_add_co_u32 v2, vcc_lo, v0, s6
	v_add_co_ci_u32_e32 v3, vcc_lo, s7, v1, vcc_lo
	global_load_dword v75, v[10:11], off offset:256
	global_load_dword v20, v[0:1], off
	s_clause 0x1
	global_load_dword v72, v[10:11], off offset:1856
	global_load_dword v71, v[12:13], off offset:1408
	global_load_dword v21, v[2:3], off
	v_add_co_u32 v0, vcc_lo, v2, s6
	v_add_co_ci_u32_e32 v1, vcc_lo, s7, v3, vcc_lo
	s_clause 0x1
	global_load_dword v68, v[14:15], off offset:960
	global_load_dword v67, v[16:17], off offset:512
	v_add_co_u32 v2, vcc_lo, v0, s6
	v_add_co_ci_u32_e32 v3, vcc_lo, s7, v1, vcc_lo
	global_load_dword v22, v[0:1], off
	v_add_co_u32 v0, vcc_lo, v2, s6
	v_add_co_ci_u32_e32 v1, vcc_lo, s7, v3, vcc_lo
	global_load_dword v23, v[2:3], off
	;; [unrolled: 3-line block ×3, first 2 shown]
	v_add_co_u32 v48, vcc_lo, 0x3800, v54
	v_mad_u64_u32 v[0:1], null, 0xffffcae0, s12, v[2:3]
	v_add_co_ci_u32_e32 v49, vcc_lo, 0, v55, vcc_lo
	global_load_dword v25, v[2:3], off
	v_add_nc_u32_e32 v1, s8, v1
	s_clause 0x2
	global_load_dword v66, v[48:49], off offset:64
	global_load_dword v65, v83, s[0:1] offset:800
	global_load_dword v63, v[4:5], off offset:1952
	global_load_dword v26, v[0:1], off
	v_add_co_u32 v0, vcc_lo, v0, s6
	v_add_co_ci_u32_e32 v1, vcc_lo, s7, v1, vcc_lo
	global_load_dword v64, v[4:5], off offset:352
	v_add_co_u32 v2, vcc_lo, v0, s6
	v_add_co_ci_u32_e32 v3, vcc_lo, s7, v1, vcc_lo
	global_load_dword v4, v[0:1], off
	v_add_co_u32 v0, vcc_lo, v2, s6
	v_add_co_ci_u32_e32 v1, vcc_lo, s7, v3, vcc_lo
	global_load_dword v5, v[2:3], off
	global_load_dword v27, v[0:1], off
	v_add_co_u32 v0, vcc_lo, v0, s6
	v_add_co_ci_u32_e32 v1, vcc_lo, s7, v1, vcc_lo
	global_load_dword v62, v[7:8], off offset:1504
	v_add_co_u32 v2, vcc_lo, v0, s6
	v_add_co_ci_u32_e32 v3, vcc_lo, s7, v1, vcc_lo
	global_load_dword v61, v[10:11], off offset:1056
	global_load_dword v7, v[0:1], off
	s_clause 0x1
	global_load_dword v60, v[12:13], off offset:608
	global_load_dword v58, v[14:15], off offset:1760
	global_load_dword v8, v[2:3], off
	v_add_co_u32 v0, vcc_lo, v2, s6
	v_add_co_ci_u32_e32 v1, vcc_lo, s7, v3, vcc_lo
	global_load_dword v59, v[14:15], off offset:160
	v_add_co_u32 v2, vcc_lo, v0, s6
	v_add_co_ci_u32_e32 v3, vcc_lo, s7, v1, vcc_lo
	global_load_dword v10, v[0:1], off
	v_add_co_u32 v0, vcc_lo, v2, s6
	v_add_co_ci_u32_e32 v1, vcc_lo, s7, v3, vcc_lo
	global_load_dword v11, v[2:3], off
	;; [unrolled: 3-line block ×3, first 2 shown]
	global_load_dword v1, v[2:3], off
	s_clause 0x1
	global_load_dword v57, v[16:17], off offset:1312
	global_load_dword v56, v[48:49], off offset:864
	s_load_dwordx4 s[8:11], s[10:11], 0x0
	v_cmp_gt_u16_e32 vcc_lo, 0x64, v46
	s_waitcnt vmcnt(37)
	v_lshrrev_b32_e32 v2, 16, v6
	v_mul_f16_sdwa v3, v82, v6 dst_sel:DWORD dst_unused:UNUSED_PAD src0_sel:WORD_1 src1_sel:DWORD
	s_waitcnt vmcnt(36)
	v_lshrrev_b32_e32 v13, 16, v9
	v_mul_f16_sdwa v14, v81, v9 dst_sel:DWORD dst_unused:UNUSED_PAD src0_sel:WORD_1 src1_sel:DWORD
	v_mul_f16_sdwa v12, v82, v2 dst_sel:DWORD dst_unused:UNUSED_PAD src0_sel:WORD_1 src1_sel:DWORD
	v_fma_f16 v2, v82, v2, -v3
	v_mul_f16_sdwa v3, v81, v13 dst_sel:DWORD dst_unused:UNUSED_PAD src0_sel:WORD_1 src1_sel:DWORD
	v_fma_f16 v13, v81, v13, -v14
	v_fmac_f16_e32 v12, v82, v6
	v_fmac_f16_e32 v3, v81, v9
	s_waitcnt vmcnt(35)
	v_lshrrev_b32_e32 v6, 16, v18
	s_waitcnt vmcnt(34)
	v_mul_f16_sdwa v14, v79, v18 dst_sel:DWORD dst_unused:UNUSED_PAD src0_sel:WORD_1 src1_sel:DWORD
	v_pack_b32_f16 v2, v12, v2
	s_waitcnt vmcnt(33)
	v_lshrrev_b32_e32 v12, 16, v19
	v_pack_b32_f16 v3, v3, v13
	v_mul_f16_sdwa v9, v79, v6 dst_sel:DWORD dst_unused:UNUSED_PAD src0_sel:WORD_1 src1_sel:DWORD
	v_fma_f16 v6, v79, v6, -v14
	s_waitcnt vmcnt(32)
	v_mul_f16_sdwa v15, v76, v19 dst_sel:DWORD dst_unused:UNUSED_PAD src0_sel:WORD_1 src1_sel:DWORD
	v_mul_f16_sdwa v13, v76, v12 dst_sel:DWORD dst_unused:UNUSED_PAD src0_sel:WORD_1 src1_sel:DWORD
	s_waitcnt vmcnt(30)
	v_lshrrev_b32_e32 v14, 16, v20
	v_fmac_f16_e32 v9, v79, v18
	ds_write_b32 v83, v3 offset:1600
	v_fma_f16 v12, v76, v12, -v15
	v_mul_f16_sdwa v15, v75, v20 dst_sel:DWORD dst_unused:UNUSED_PAD src0_sel:WORD_1 src1_sel:DWORD
	v_fmac_f16_e32 v13, v76, v19
	v_pack_b32_f16 v3, v9, v6
	v_mul_f16_sdwa v6, v75, v14 dst_sel:DWORD dst_unused:UNUSED_PAD src0_sel:WORD_1 src1_sel:DWORD
	v_fma_f16 v9, v75, v14, -v15
	s_waitcnt vmcnt(27)
	v_lshrrev_b32_e32 v14, 16, v21
	v_mul_f16_sdwa v15, v72, v21 dst_sel:DWORD dst_unused:UNUSED_PAD src0_sel:WORD_1 src1_sel:DWORD
	ds_write_b32 v83, v3 offset:3200
	v_pack_b32_f16 v3, v13, v12
	v_fmac_f16_e32 v6, v75, v20
	v_mul_f16_sdwa v12, v72, v14 dst_sel:DWORD dst_unused:UNUSED_PAD src0_sel:WORD_1 src1_sel:DWORD
	v_fma_f16 v13, v72, v14, -v15
	s_waitcnt vmcnt(24)
	v_lshrrev_b32_e32 v14, 16, v22
	v_mul_f16_sdwa v15, v71, v22 dst_sel:DWORD dst_unused:UNUSED_PAD src0_sel:WORD_1 src1_sel:DWORD
	ds_write_b32 v83, v3 offset:4800
	v_pack_b32_f16 v3, v6, v9
	v_fmac_f16_e32 v12, v72, v21
	;; [unrolled: 8-line block ×3, first 2 shown]
	s_waitcnt vmcnt(22)
	v_lshrrev_b32_e32 v13, 16, v24
	v_mul_f16_sdwa v12, v68, v14 dst_sel:DWORD dst_unused:UNUSED_PAD src0_sel:WORD_1 src1_sel:DWORD
	v_fma_f16 v14, v68, v14, -v15
	v_mul_f16_sdwa v15, v67, v24 dst_sel:DWORD dst_unused:UNUSED_PAD src0_sel:WORD_1 src1_sel:DWORD
	ds_write_b32 v83, v3 offset:8000
	v_pack_b32_f16 v3, v6, v9
	v_mul_f16_sdwa v6, v67, v13 dst_sel:DWORD dst_unused:UNUSED_PAD src0_sel:WORD_1 src1_sel:DWORD
	s_waitcnt vmcnt(21)
	v_lshrrev_b32_e32 v9, 16, v25
	v_fmac_f16_e32 v12, v68, v23
	v_fma_f16 v13, v67, v13, -v15
	s_waitcnt vmcnt(20)
	v_mul_f16_sdwa v15, v66, v25 dst_sel:DWORD dst_unused:UNUSED_PAD src0_sel:WORD_1 src1_sel:DWORD
	v_fmac_f16_e32 v6, v67, v24
	v_mul_f16_sdwa v16, v66, v9 dst_sel:DWORD dst_unused:UNUSED_PAD src0_sel:WORD_1 src1_sel:DWORD
	ds_write_b32 v83, v3 offset:9600
	v_pack_b32_f16 v3, v12, v14
	v_fma_f16 v9, v66, v9, -v15
	v_pack_b32_f16 v6, v6, v13
	v_fmac_f16_e32 v16, v66, v25
	s_waitcnt vmcnt(17)
	v_lshrrev_b32_e32 v12, 16, v26
	ds_write_b32 v83, v3 offset:11200
	v_mul_f16_sdwa v3, v65, v26 dst_sel:DWORD dst_unused:UNUSED_PAD src0_sel:WORD_1 src1_sel:DWORD
	ds_write_b32 v83, v6 offset:12800
	v_pack_b32_f16 v6, v16, v9
	v_mul_f16_sdwa v9, v65, v12 dst_sel:DWORD dst_unused:UNUSED_PAD src0_sel:WORD_1 src1_sel:DWORD
	s_waitcnt vmcnt(15)
	v_lshrrev_b32_e32 v13, 16, v4
	v_fma_f16 v3, v65, v12, -v3
	v_mul_f16_sdwa v12, v64, v4 dst_sel:DWORD dst_unused:UNUSED_PAD src0_sel:WORD_1 src1_sel:DWORD
	ds_write_b32 v83, v6 offset:14400
	v_fmac_f16_e32 v9, v65, v26
	v_mul_f16_sdwa v6, v64, v13 dst_sel:DWORD dst_unused:UNUSED_PAD src0_sel:WORD_1 src1_sel:DWORD
	s_waitcnt vmcnt(14)
	v_lshrrev_b32_e32 v14, 16, v5
	v_mul_f16_sdwa v15, v63, v5 dst_sel:DWORD dst_unused:UNUSED_PAD src0_sel:WORD_1 src1_sel:DWORD
	v_fma_f16 v12, v64, v13, -v12
	v_pack_b32_f16 v3, v9, v3
	v_fmac_f16_e32 v6, v64, v4
	v_mul_f16_sdwa v4, v63, v14 dst_sel:DWORD dst_unused:UNUSED_PAD src0_sel:WORD_1 src1_sel:DWORD
	s_waitcnt vmcnt(13)
	v_lshrrev_b32_e32 v13, 16, v27
	v_fma_f16 v9, v63, v14, -v15
	s_waitcnt vmcnt(12)
	v_mul_f16_sdwa v14, v62, v27 dst_sel:DWORD dst_unused:UNUSED_PAD src0_sel:WORD_1 src1_sel:DWORD
	ds_write2_b32 v83, v2, v3 offset1:200
	v_pack_b32_f16 v2, v6, v12
	v_fmac_f16_e32 v4, v63, v5
	v_mul_f16_sdwa v3, v62, v13 dst_sel:DWORD dst_unused:UNUSED_PAD src0_sel:WORD_1 src1_sel:DWORD
	s_waitcnt vmcnt(10)
	v_lshrrev_b32_e32 v6, 16, v7
	v_mul_f16_sdwa v12, v61, v7 dst_sel:DWORD dst_unused:UNUSED_PAD src0_sel:WORD_1 src1_sel:DWORD
	v_fma_f16 v5, v62, v13, -v14
	ds_write_b32 v83, v2 offset:2400
	v_pack_b32_f16 v2, v4, v9
	v_fmac_f16_e32 v3, v62, v27
	v_mul_f16_sdwa v4, v61, v6 dst_sel:DWORD dst_unused:UNUSED_PAD src0_sel:WORD_1 src1_sel:DWORD
	v_fma_f16 v6, v61, v6, -v12
	s_waitcnt vmcnt(7)
	v_lshrrev_b32_e32 v9, 16, v8
	v_mul_f16_sdwa v12, v60, v8 dst_sel:DWORD dst_unused:UNUSED_PAD src0_sel:WORD_1 src1_sel:DWORD
	ds_write_b32 v83, v2 offset:4000
	v_pack_b32_f16 v2, v3, v5
	v_fmac_f16_e32 v4, v61, v7
	s_waitcnt vmcnt(5)
	v_lshrrev_b32_e32 v7, 16, v10
	v_mul_f16_sdwa v3, v60, v9 dst_sel:DWORD dst_unused:UNUSED_PAD src0_sel:WORD_1 src1_sel:DWORD
	v_fma_f16 v5, v60, v9, -v12
	v_mul_f16_sdwa v9, v59, v10 dst_sel:DWORD dst_unused:UNUSED_PAD src0_sel:WORD_1 src1_sel:DWORD
	ds_write_b32 v83, v2 offset:5600
	v_pack_b32_f16 v2, v4, v6
	v_mul_f16_sdwa v4, v59, v7 dst_sel:DWORD dst_unused:UNUSED_PAD src0_sel:WORD_1 src1_sel:DWORD
	v_fmac_f16_e32 v3, v60, v8
	v_fma_f16 v6, v59, v7, -v9
	s_waitcnt vmcnt(4)
	v_lshrrev_b32_e32 v7, 16, v11
	v_mul_f16_sdwa v8, v58, v11 dst_sel:DWORD dst_unused:UNUSED_PAD src0_sel:WORD_1 src1_sel:DWORD
	ds_write_b32 v83, v2 offset:7200
	s_waitcnt vmcnt(3)
	v_lshrrev_b32_e32 v2, 16, v0
	v_fmac_f16_e32 v4, v59, v10
	s_waitcnt vmcnt(2)
	v_lshrrev_b32_e32 v10, 16, v1
	v_mul_f16_sdwa v9, v58, v7 dst_sel:DWORD dst_unused:UNUSED_PAD src0_sel:WORD_1 src1_sel:DWORD
	v_fma_f16 v7, v58, v7, -v8
	s_waitcnt vmcnt(1)
	v_mul_f16_sdwa v8, v57, v0 dst_sel:DWORD dst_unused:UNUSED_PAD src0_sel:WORD_1 src1_sel:DWORD
	v_mul_f16_sdwa v12, v57, v2 dst_sel:DWORD dst_unused:UNUSED_PAD src0_sel:WORD_1 src1_sel:DWORD
	s_waitcnt vmcnt(0)
	v_mul_f16_sdwa v13, v56, v1 dst_sel:DWORD dst_unused:UNUSED_PAD src0_sel:WORD_1 src1_sel:DWORD
	v_mul_f16_sdwa v14, v56, v10 dst_sel:DWORD dst_unused:UNUSED_PAD src0_sel:WORD_1 src1_sel:DWORD
	v_fmac_f16_e32 v9, v58, v11
	v_fma_f16 v2, v57, v2, -v8
	v_fmac_f16_e32 v12, v57, v0
	v_fma_f16 v0, v56, v10, -v13
	v_fmac_f16_e32 v14, v56, v1
	v_pack_b32_f16 v1, v3, v5
	v_pack_b32_f16 v3, v4, v6
	;; [unrolled: 1-line block ×5, first 2 shown]
	ds_write_b32 v83, v1 offset:8800
	ds_write_b32 v83, v3 offset:10400
	;; [unrolled: 1-line block ×5, first 2 shown]
	s_waitcnt lgkmcnt(0)
	s_barrier
	buffer_gl0_inv
	ds_read2_b32 v[8:9], v85 offset0:32 offset1:232
	ds_read2_b32 v[2:3], v74 offset0:32 offset1:232
	ds_read2_b32 v[0:1], v70 offset1:200
	ds_read2_b32 v[6:7], v78 offset1:200
	;; [unrolled: 1-line block ×3, first 2 shown]
	ds_read2_b32 v[10:11], v84 offset0:48 offset1:248
	ds_read2_b32 v[12:13], v73 offset0:48 offset1:248
	;; [unrolled: 1-line block ×5, first 2 shown]
	v_mul_lo_u16 v20, v46, 10
	s_waitcnt lgkmcnt(0)
	s_barrier
	buffer_gl0_inv
	v_lshlrev_b32_sdwa v88, v94, v20 dst_sel:DWORD dst_unused:UNUSED_PAD src0_sel:DWORD src1_sel:WORD_0
	v_sub_f16_e32 v20, v2, v0
	v_sub_f16_e32 v21, v6, v8
	v_add_f16_sdwa v22, v6, v2 dst_sel:DWORD dst_unused:UNUSED_PAD src0_sel:WORD_1 src1_sel:WORD_1
	v_lshrrev_b32_e32 v23, 16, v4
	v_add_f16_sdwa v24, v8, v0 dst_sel:DWORD dst_unused:UNUSED_PAD src0_sel:WORD_1 src1_sel:WORD_1
	v_sub_f16_sdwa v25, v6, v8 dst_sel:DWORD dst_unused:UNUSED_PAD src0_sel:WORD_1 src1_sel:WORD_1
	v_sub_f16_sdwa v26, v2, v0 dst_sel:DWORD dst_unused:UNUSED_PAD src0_sel:WORD_1 src1_sel:WORD_1
	v_sub_f16_e32 v27, v12, v14
	v_sub_f16_e32 v28, v16, v10
	v_add_f16_sdwa v29, v16, v12 dst_sel:DWORD dst_unused:UNUSED_PAD src0_sel:WORD_1 src1_sel:WORD_1
	v_lshrrev_b32_e32 v30, 16, v18
	v_add_f16_sdwa v31, v10, v14 dst_sel:DWORD dst_unused:UNUSED_PAD src0_sel:WORD_1 src1_sel:WORD_1
	v_add_f16_e32 v39, v10, v14
	v_add_f16_e32 v90, v16, v12
	v_sub_f16_sdwa v32, v16, v10 dst_sel:DWORD dst_unused:UNUSED_PAD src0_sel:WORD_1 src1_sel:WORD_1
	v_sub_f16_sdwa v33, v12, v14 dst_sel:DWORD dst_unused:UNUSED_PAD src0_sel:WORD_1 src1_sel:WORD_1
	v_add_f16_e32 v34, v8, v0
	v_sub_f16_sdwa v36, v8, v0 dst_sel:DWORD dst_unused:UNUSED_PAD src0_sel:WORD_1 src1_sel:WORD_1
	v_sub_f16_e32 v38, v8, v0
	v_sub_f16_sdwa v40, v16, v12 dst_sel:DWORD dst_unused:UNUSED_PAD src0_sel:WORD_1 src1_sel:WORD_1
	v_sub_f16_sdwa v41, v10, v14 dst_sel:DWORD dst_unused:UNUSED_PAD src0_sel:WORD_1 src1_sel:WORD_1
	v_sub_f16_e32 v42, v16, v12
	v_sub_f16_e32 v43, v10, v14
	;; [unrolled: 1-line block ×3, first 2 shown]
	v_sub_f16_sdwa v50, v8, v6 dst_sel:DWORD dst_unused:UNUSED_PAD src0_sel:WORD_1 src1_sel:WORD_1
	v_sub_f16_sdwa v51, v0, v2 dst_sel:DWORD dst_unused:UNUSED_PAD src0_sel:WORD_1 src1_sel:WORD_1
	v_sub_f16_e32 v53, v10, v16
	v_sub_f16_sdwa v87, v10, v16 dst_sel:DWORD dst_unused:UNUSED_PAD src0_sel:WORD_1 src1_sel:WORD_1
	v_sub_f16_sdwa v89, v14, v12 dst_sel:DWORD dst_unused:UNUSED_PAD src0_sel:WORD_1 src1_sel:WORD_1
	v_add_f16_e32 v91, v6, v2
	v_pk_add_f16 v8, v4, v8
	v_pk_add_f16 v10, v18, v10
	;; [unrolled: 1-line block ×4, first 2 shown]
	v_sub_f16_e32 v112, v11, v17
	v_sub_f16_e32 v113, v17, v11
	v_add_f16_sdwa v114, v17, v13 dst_sel:DWORD dst_unused:UNUSED_PAD src0_sel:WORD_1 src1_sel:WORD_1
	v_sub_f16_sdwa v116, v11, v17 dst_sel:DWORD dst_unused:UNUSED_PAD src0_sel:WORD_1 src1_sel:WORD_1
	v_sub_f16_sdwa v117, v17, v11 dst_sel:DWORD dst_unused:UNUSED_PAD src0_sel:WORD_1 src1_sel:WORD_1
	;; [unrolled: 1-line block ×3, first 2 shown]
	v_add_f16_e32 v119, v11, v15
	v_sub_f16_e32 v120, v11, v15
	v_add_f16_sdwa v11, v11, v15 dst_sel:DWORD dst_unused:UNUSED_PAD src0_sel:WORD_1 src1_sel:WORD_1
	v_lshrrev_b32_e32 v126, 16, v19
	v_add_f16_e32 v20, v21, v20
	v_fma_f16 v21, -0.5, v22, v23
	v_fmac_f16_e32 v23, -0.5, v24
	v_add_f16_e32 v22, v25, v26
	v_add_f16_e32 v24, v28, v27
	v_fma_f16 v25, -0.5, v29, v30
	v_fmac_f16_e32 v30, -0.5, v31
	v_fma_f16 v28, -0.5, v39, v18
	v_fma_f16 v18, -0.5, v90, v18
	v_sub_f16_sdwa v35, v6, v2 dst_sel:DWORD dst_unused:UNUSED_PAD src0_sel:WORD_1 src1_sel:WORD_1
	v_sub_f16_e32 v37, v6, v2
	v_sub_f16_e32 v52, v14, v12
	v_add_f16_e32 v93, v7, v3
	v_sub_f16_sdwa v95, v7, v3 dst_sel:DWORD dst_unused:UNUSED_PAD src0_sel:WORD_1 src1_sel:WORD_1
	v_sub_f16_e32 v96, v9, v7
	v_sub_f16_e32 v97, v7, v9
	v_add_f16_sdwa v98, v7, v3 dst_sel:DWORD dst_unused:UNUSED_PAD src0_sel:WORD_1 src1_sel:WORD_1
	v_sub_f16_e32 v99, v7, v3
	v_sub_f16_sdwa v100, v9, v7 dst_sel:DWORD dst_unused:UNUSED_PAD src0_sel:WORD_1 src1_sel:WORD_1
	v_sub_f16_sdwa v101, v7, v9 dst_sel:DWORD dst_unused:UNUSED_PAD src0_sel:WORD_1 src1_sel:WORD_1
	v_add_f16_e32 v103, v9, v1
	v_sub_f16_sdwa v111, v17, v13 dst_sel:DWORD dst_unused:UNUSED_PAD src0_sel:WORD_1 src1_sel:WORD_1
	v_sub_f16_e32 v115, v17, v13
	v_add_f16_e32 v26, v32, v33
	v_fma_f16 v27, -0.5, v34, v4
	v_add_f16_e32 v31, v50, v51
	v_add_f16_e32 v33, v87, v89
	v_fma_f16 v34, -0.5, v91, v4
	v_pk_add_f16 v4, v8, v6
	v_pk_add_f16 v6, v10, v16
	;; [unrolled: 1-line block ×4, first 2 shown]
	v_fma_f16 v10, -0.5, v119, v19
	v_fma_f16 v51, -0.5, v114, v126
	v_fmac_f16_e32 v126, -0.5, v11
	v_fmamk_f16 v87, v40, 0xbb9c, v28
	v_fmac_f16_e32 v28, 0x3b9c, v40
	v_fmamk_f16 v89, v42, 0x3b9c, v30
	v_fmac_f16_e32 v30, 0xbb9c, v42
	v_fmamk_f16 v90, v41, 0x3b9c, v18
	v_fmamk_f16 v91, v43, 0xbb9c, v25
	v_fmac_f16_e32 v18, 0xbb9c, v41
	v_fmac_f16_e32 v25, 0x3b9c, v43
	v_sub_f16_e32 v44, v0, v2
	v_sub_f16_e32 v105, v1, v3
	;; [unrolled: 1-line block ×3, first 2 shown]
	v_sub_f16_sdwa v107, v1, v3 dst_sel:DWORD dst_unused:UNUSED_PAD src0_sel:WORD_1 src1_sel:WORD_1
	v_sub_f16_sdwa v108, v3, v1 dst_sel:DWORD dst_unused:UNUSED_PAD src0_sel:WORD_1 src1_sel:WORD_1
	v_add_f16_e32 v110, v17, v13
	v_sub_f16_e32 v122, v13, v15
	v_sub_f16_sdwa v124, v13, v15 dst_sel:DWORD dst_unused:UNUSED_PAD src0_sel:WORD_1 src1_sel:WORD_1
	v_lshrrev_b32_e32 v125, 16, v5
	v_add_f16_e32 v32, v53, v52
	v_fma_f16 v16, -0.5, v93, v5
	v_fma_f16 v17, -0.5, v103, v5
	v_pk_add_f16 v2, v4, v2
	v_pk_add_f16 v4, v6, v12
	;; [unrolled: 1-line block ×4, first 2 shown]
	v_fmamk_f16 v7, v111, 0xbb9c, v10
	v_fmamk_f16 v8, v115, 0x3b9c, v126
	v_fmac_f16_e32 v126, 0xbb9c, v115
	v_fmac_f16_e32 v87, 0x38b4, v41
	;; [unrolled: 1-line block ×8, first 2 shown]
	v_sub_f16_sdwa v102, v9, v1 dst_sel:DWORD dst_unused:UNUSED_PAD src0_sel:WORD_1 src1_sel:WORD_1
	v_sub_f16_e32 v104, v9, v1
	v_add_f16_sdwa v9, v9, v1 dst_sel:DWORD dst_unused:UNUSED_PAD src0_sel:WORD_1 src1_sel:WORD_1
	v_fma_f16 v39, -0.5, v110, v19
	v_add_f16_e32 v19, v97, v106
	v_add_f16_e32 v50, v113, v122
	v_add_f16_e32 v11, v117, v124
	v_fmamk_f16 v52, v35, 0xbb9c, v27
	v_fmac_f16_e32 v27, 0x3b9c, v35
	v_fmamk_f16 v53, v37, 0x3b9c, v23
	v_fmac_f16_e32 v23, 0xbb9c, v37
	v_fmamk_f16 v92, v36, 0x3b9c, v34
	v_fmamk_f16 v93, v38, 0xbb9c, v21
	;; [unrolled: 1-line block ×3, first 2 shown]
	v_fmac_f16_e32 v17, 0x3b9c, v95
	v_fmac_f16_e32 v10, 0x3b9c, v111
	;; [unrolled: 1-line block ×3, first 2 shown]
	v_pk_add_f16 v0, v2, v0
	v_pk_add_f16 v2, v4, v14
	v_fmac_f16_e32 v7, 0x38b4, v118
	v_fmac_f16_e32 v8, 0xb8b4, v120
	v_fmac_f16_e32 v126, 0x38b4, v120
	v_fmac_f16_e32 v87, 0x34f2, v24
	v_fmac_f16_e32 v28, 0x34f2, v24
	v_fmac_f16_e32 v89, 0x34f2, v26
	v_fmac_f16_e32 v30, 0x34f2, v26
	v_fmac_f16_e32 v90, 0x34f2, v32
	v_fmac_f16_e32 v34, 0xbb9c, v36
	v_fmac_f16_e32 v21, 0x3b9c, v38
	v_fmac_f16_e32 v18, 0x34f2, v32
	v_fmac_f16_e32 v25, 0x34f2, v33
	v_add_f16_e32 v29, v45, v44
	v_fma_f16 v44, -0.5, v98, v125
	v_fmac_f16_e32 v125, -0.5, v9
	v_fmac_f16_e32 v52, 0x38b4, v36
	v_fmac_f16_e32 v27, 0xb8b4, v36
	;; [unrolled: 1-line block ×6, first 2 shown]
	v_pk_add_f16 v4, v3, v1
	v_fmac_f16_e32 v97, 0x38b4, v102
	v_fmac_f16_e32 v17, 0xb8b4, v102
	v_fmac_f16_e32 v10, 0xb8b4, v118
	v_fmac_f16_e32 v91, 0x34f2, v33
	v_pk_add_f16 v6, v0, v2
	v_pk_add_f16 v9, v0, v2 neg_lo:[0,1] neg_hi:[0,1]
	v_fmac_f16_e32 v7, 0x34f2, v50
	v_fmac_f16_e32 v8, 0x34f2, v11
	v_fmac_f16_e32 v126, 0x34f2, v11
	v_mul_f16_e32 v0, 0xb4f2, v28
	v_mul_f16_e32 v1, 0xb4f2, v30
	;; [unrolled: 1-line block ×6, first 2 shown]
	v_sub_f16_e32 v121, v15, v13
	v_sub_f16_sdwa v123, v15, v13 dst_sel:DWORD dst_unused:UNUSED_PAD src0_sel:WORD_1 src1_sel:WORD_1
	v_fmac_f16_e32 v34, 0xb8b4, v35
	v_fmac_f16_e32 v21, 0x38b4, v37
	v_mul_f16_e32 v13, 0xba79, v18
	v_mul_f16_e32 v14, 0xba79, v25
	v_fmac_f16_e32 v52, 0x34f2, v20
	v_fmac_f16_e32 v27, 0x34f2, v20
	;; [unrolled: 1-line block ×9, first 2 shown]
	v_mul_f16_e32 v19, 0xb4f2, v126
	v_mul_f16_e32 v20, 0x3b9c, v8
	;; [unrolled: 1-line block ×3, first 2 shown]
	v_fmac_f16_e32 v0, 0x3b9c, v30
	v_fmac_f16_e32 v1, 0xbb9c, v28
	;; [unrolled: 1-line block ×10, first 2 shown]
	v_pk_add_f16 v5, v5, v15
	v_mul_f16_e32 v15, 0xb4f2, v10
	v_fmac_f16_e32 v19, 0xbb9c, v10
	v_fmac_f16_e32 v20, 0x34f2, v7
	;; [unrolled: 1-line block ×3, first 2 shown]
	v_add_f16_e32 v7, v27, v0
	v_add_f16_e32 v8, v23, v1
	;; [unrolled: 1-line block ×6, first 2 shown]
	v_sub_f16_e32 v26, v92, v11
	v_sub_f16_e32 v2, v52, v2
	;; [unrolled: 1-line block ×4, first 2 shown]
	v_add_f16_e32 v28, v34, v13
	v_add_f16_e32 v29, v21, v14
	v_pack_b32_f16 v11, v7, v8
	v_pack_b32_f16 v10, v10, v18
	;; [unrolled: 1-line block ×3, first 2 shown]
	v_sub_f16_e32 v0, v27, v0
	v_sub_f16_e32 v27, v34, v13
	v_pack_b32_f16 v12, v26, v12
	v_pack_b32_f16 v13, v2, v3
	;; [unrolled: 1-line block ×3, first 2 shown]
	ds_write2_b64 v88, v[6:7], v[10:11] offset1:1
	ds_write2_b64 v88, v[8:9], v[12:13] offset0:2 offset1:3
	v_fmamk_f16 v8, v118, 0x3b9c, v39
	v_fmac_f16_e32 v39, 0xbb9c, v118
	v_add_f16_e32 v45, v101, v108
	v_fmamk_f16 v101, v102, 0x3b9c, v16
	v_fmac_f16_e32 v16, 0xbb9c, v102
	v_add_f16_e32 v10, v112, v121
	v_fmamk_f16 v11, v120, 0xbb9c, v51
	v_fmac_f16_e32 v51, 0x3b9c, v120
	v_fmac_f16_e32 v8, 0x38b4, v111
	;; [unrolled: 1-line block ×3, first 2 shown]
	v_add_f16_e32 v6, v96, v105
	v_fmac_f16_e32 v101, 0x38b4, v95
	v_fmac_f16_e32 v16, 0xb8b4, v95
	v_add_f16_e32 v12, v116, v123
	v_fmac_f16_e32 v11, 0xb8b4, v115
	v_fmac_f16_e32 v51, 0x38b4, v115
	;; [unrolled: 1-line block ×4, first 2 shown]
	v_fmamk_f16 v9, v104, 0xbb9c, v44
	v_fmac_f16_e32 v44, 0x3b9c, v104
	v_fmac_f16_e32 v101, 0x34f2, v6
	;; [unrolled: 1-line block ×5, first 2 shown]
	v_mul_f16_e32 v6, 0x3a79, v8
	v_mul_f16_e32 v10, 0xb8b4, v8
	;; [unrolled: 1-line block ×3, first 2 shown]
	v_fmamk_f16 v98, v99, 0x3b9c, v125
	v_fmac_f16_e32 v125, 0xbb9c, v99
	v_fmac_f16_e32 v15, 0x3b9c, v126
	v_sub_f16_e32 v14, v21, v14
	v_add_f16_e32 v7, v100, v107
	v_fmac_f16_e32 v9, 0xb8b4, v99
	v_fmac_f16_e32 v44, 0x38b4, v99
	;; [unrolled: 1-line block ×5, first 2 shown]
	v_add_f16_e32 v21, v17, v15
	v_pack_b32_f16 v3, v27, v14
	v_fmac_f16_e32 v9, 0x34f2, v7
	v_fmac_f16_e32 v44, 0x34f2, v7
	;; [unrolled: 1-line block ×3, first 2 shown]
	v_add_f16_e32 v18, v101, v6
	v_sub_f16_e32 v14, v101, v6
	v_sub_f16_e32 v6, v17, v15
	v_add_f16_e32 v7, v16, v8
	v_sub_f16_e32 v11, v16, v8
	v_add_co_u32 v8, null, 0xc8, v77
	v_mov_b32_e32 v15, 0xcccd
	v_and_b32_e32 v12, 0xff, v46
	v_fmac_f16_e32 v98, 0xb8b4, v104
	v_fmac_f16_e32 v125, 0x34f2, v45
	v_mul_f16_e32 v13, 0xba79, v51
	v_add_f16_e32 v16, v9, v10
	v_sub_f16_e32 v10, v9, v10
	v_mul_u32_u24_sdwa v9, v8, v15 dst_sel:DWORD dst_unused:UNUSED_PAD src0_sel:WORD_0 src1_sel:DWORD
	v_mul_lo_u16 v12, 0xcd, v12
	v_fmac_f16_e32 v98, 0x34f2, v45
	v_sub_f16_e32 v1, v23, v1
	v_add_f16_e32 v23, v125, v19
	v_fmac_f16_e32 v13, 0xb8b4, v39
	v_lshrrev_b32_e32 v9, 19, v9
	v_lshrrev_b16 v12, 11, v12
	v_add_f16_e32 v31, v98, v22
	v_pack_b32_f16 v2, v0, v1
	v_pack_b32_f16 v1, v21, v23
	v_sub_f16_e32 v17, v98, v22
	v_add_f16_e32 v21, v44, v13
	v_sub_f16_e32 v22, v44, v13
	v_pack_b32_f16 v13, v14, v10
	v_mul_lo_u16 v10, v9, 10
	v_add_f16_e32 v30, v97, v20
	v_sub_f16_e32 v20, v97, v20
	v_mul_lo_u16 v15, v12, 10
	v_mul_u32_u24_e32 v23, 10, v8
	v_sub_nc_u16 v10, v8, v10
	v_sub_f16_e32 v19, v125, v19
	v_pack_b32_f16 v14, v20, v17
	v_sub_nc_u16 v17, v46, v15
	v_pk_add_f16 v15, v4, v5
	v_pk_add_f16 v5, v4, v5 neg_lo:[0,1] neg_hi:[0,1]
	v_pack_b32_f16 v4, v7, v21
	v_pack_b32_f16 v7, v11, v22
	v_mul_lo_u16 v11, v10, 36
	v_and_b32_e32 v38, 0xff, v17
	v_pack_b32_f16 v0, v30, v31
	v_lshlrev_b32_e32 v92, 2, v23
	v_pack_b32_f16 v16, v18, v16
	ds_write_b64 v88, v[2:3] offset:32
	v_and_b32_e32 v2, 0xffff, v11
	v_pack_b32_f16 v6, v6, v19
	v_mad_u64_u32 v[17:18], null, v38, 36, s[2:3]
	ds_write2_b64 v92, v[15:16], v[0:1] offset1:1
	ds_write2_b64 v92, v[4:5], v[13:14] offset0:2 offset1:3
	ds_write_b64 v92, v[6:7] offset:32
	v_add_co_u32 v0, s0, s2, v2
	v_add_co_ci_u32_e64 v1, null, s3, 0, s0
	s_waitcnt lgkmcnt(0)
	s_barrier
	buffer_gl0_inv
	s_clause 0x5
	global_load_dwordx4 v[28:31], v[17:18], off
	global_load_dwordx4 v[24:27], v[0:1], off
	global_load_dwordx4 v[20:23], v[17:18], off offset:16
	global_load_dwordx4 v[4:7], v[0:1], off offset:16
	global_load_dword v99, v[17:18], off offset:32
	global_load_dword v90, v[0:1], off offset:32
	v_mov_b32_e32 v0, 0x64
	ds_read2_b32 v[1:2], v86 offset0:16 offset1:216
	ds_read2_b32 v[13:14], v85 offset0:32 offset1:232
	;; [unrolled: 1-line block ×3, first 2 shown]
	ds_read2_b32 v[17:18], v78 offset1:200
	ds_read2_b32 v[32:33], v80 offset0:16 offset1:216
	v_mad_u16 v9, 0x64, v9, v10
	v_mul_u32_u24_sdwa v0, v12, v0 dst_sel:DWORD dst_unused:UNUSED_PAD src0_sel:WORD_0 src1_sel:DWORD
	ds_read2_b32 v[11:12], v74 offset0:32 offset1:232
	ds_read2_b32 v[34:35], v73 offset0:48 offset1:248
	ds_read2_b32 v[36:37], v70 offset1:200
	v_add_lshl_u32 v89, v0, v38, 2
	ds_read2_b32 v[38:39], v69 offset0:16 offset1:216
	ds_read2_b32 v[40:41], v83 offset1:200
	s_waitcnt vmcnt(0) lgkmcnt(0)
	s_barrier
	buffer_gl0_inv
	v_lshrrev_b32_e32 v3, 16, v1
	v_lshrrev_b32_e32 v42, 16, v13
	;; [unrolled: 1-line block ×20, first 2 shown]
	v_mul_f16_sdwa v102, v3, v28 dst_sel:DWORD dst_unused:UNUSED_PAD src0_sel:DWORD src1_sel:WORD_1
	v_mul_f16_sdwa v104, v1, v28 dst_sel:DWORD dst_unused:UNUSED_PAD src0_sel:DWORD src1_sel:WORD_1
	v_mul_f16_sdwa v106, v42, v29 dst_sel:DWORD dst_unused:UNUSED_PAD src0_sel:DWORD src1_sel:WORD_1
	v_mul_f16_sdwa v107, v43, v25 dst_sel:DWORD dst_unused:UNUSED_PAD src0_sel:DWORD src1_sel:WORD_1
	v_mul_f16_sdwa v108, v13, v29 dst_sel:DWORD dst_unused:UNUSED_PAD src0_sel:DWORD src1_sel:WORD_1
	v_mul_f16_sdwa v110, v44, v30 dst_sel:DWORD dst_unused:UNUSED_PAD src0_sel:DWORD src1_sel:WORD_1
	v_mul_f16_sdwa v111, v45, v26 dst_sel:DWORD dst_unused:UNUSED_PAD src0_sel:DWORD src1_sel:WORD_1
	v_mul_f16_sdwa v112, v15, v30 dst_sel:DWORD dst_unused:UNUSED_PAD src0_sel:DWORD src1_sel:WORD_1
	v_mul_f16_sdwa v113, v16, v26 dst_sel:DWORD dst_unused:UNUSED_PAD src0_sel:DWORD src1_sel:WORD_1
	v_mul_f16_sdwa v114, v50, v31 dst_sel:DWORD dst_unused:UNUSED_PAD src0_sel:DWORD src1_sel:WORD_1
	v_mul_f16_sdwa v115, v51, v27 dst_sel:DWORD dst_unused:UNUSED_PAD src0_sel:DWORD src1_sel:WORD_1
	v_mul_f16_sdwa v118, v52, v20 dst_sel:DWORD dst_unused:UNUSED_PAD src0_sel:DWORD src1_sel:WORD_1
	v_mul_f16_sdwa v119, v53, v4 dst_sel:DWORD dst_unused:UNUSED_PAD src0_sel:DWORD src1_sel:WORD_1
	v_mul_f16_sdwa v120, v32, v20 dst_sel:DWORD dst_unused:UNUSED_PAD src0_sel:DWORD src1_sel:WORD_1
	v_mul_f16_sdwa v121, v33, v4 dst_sel:DWORD dst_unused:UNUSED_PAD src0_sel:DWORD src1_sel:WORD_1
	v_mul_f16_sdwa v122, v87, v21 dst_sel:DWORD dst_unused:UNUSED_PAD src0_sel:DWORD src1_sel:WORD_1
	v_mul_f16_sdwa v123, v91, v5 dst_sel:DWORD dst_unused:UNUSED_PAD src0_sel:DWORD src1_sel:WORD_1
	v_mul_f16_sdwa v126, v93, v22 dst_sel:DWORD dst_unused:UNUSED_PAD src0_sel:DWORD src1_sel:WORD_1
	v_mul_f16_sdwa v127, v95, v6 dst_sel:DWORD dst_unused:UNUSED_PAD src0_sel:DWORD src1_sel:WORD_1
	v_mul_f16_sdwa v128, v34, v22 dst_sel:DWORD dst_unused:UNUSED_PAD src0_sel:DWORD src1_sel:WORD_1
	v_mul_f16_sdwa v129, v35, v6 dst_sel:DWORD dst_unused:UNUSED_PAD src0_sel:DWORD src1_sel:WORD_1
	v_mul_f16_sdwa v130, v96, v23 dst_sel:DWORD dst_unused:UNUSED_PAD src0_sel:DWORD src1_sel:WORD_1
	v_mul_f16_sdwa v131, v97, v7 dst_sel:DWORD dst_unused:UNUSED_PAD src0_sel:DWORD src1_sel:WORD_1
	v_mul_f16_sdwa v135, v100, v90 dst_sel:DWORD dst_unused:UNUSED_PAD src0_sel:DWORD src1_sel:WORD_1
	v_mul_f16_sdwa v137, v39, v90 dst_sel:DWORD dst_unused:UNUSED_PAD src0_sel:DWORD src1_sel:WORD_1
	v_mul_f16_sdwa v134, v98, v99 dst_sel:DWORD dst_unused:UNUSED_PAD src0_sel:DWORD src1_sel:WORD_1
	v_mul_f16_sdwa v136, v38, v99 dst_sel:DWORD dst_unused:UNUSED_PAD src0_sel:DWORD src1_sel:WORD_1
	v_mul_f16_sdwa v103, v19, v24 dst_sel:DWORD dst_unused:UNUSED_PAD src0_sel:DWORD src1_sel:WORD_1
	v_mul_f16_sdwa v105, v2, v24 dst_sel:DWORD dst_unused:UNUSED_PAD src0_sel:DWORD src1_sel:WORD_1
	v_mul_f16_sdwa v109, v14, v25 dst_sel:DWORD dst_unused:UNUSED_PAD src0_sel:DWORD src1_sel:WORD_1
	v_mul_f16_sdwa v116, v17, v31 dst_sel:DWORD dst_unused:UNUSED_PAD src0_sel:DWORD src1_sel:WORD_1
	v_mul_f16_sdwa v117, v18, v27 dst_sel:DWORD dst_unused:UNUSED_PAD src0_sel:DWORD src1_sel:WORD_1
	v_mul_f16_sdwa v124, v11, v21 dst_sel:DWORD dst_unused:UNUSED_PAD src0_sel:DWORD src1_sel:WORD_1
	v_mul_f16_sdwa v125, v12, v5 dst_sel:DWORD dst_unused:UNUSED_PAD src0_sel:DWORD src1_sel:WORD_1
	v_mul_f16_sdwa v132, v36, v23 dst_sel:DWORD dst_unused:UNUSED_PAD src0_sel:DWORD src1_sel:WORD_1
	v_mul_f16_sdwa v133, v37, v7 dst_sel:DWORD dst_unused:UNUSED_PAD src0_sel:DWORD src1_sel:WORD_1
	v_fma_f16 v1, v1, v28, -v102
	v_fma_f16 v13, v13, v29, -v106
	;; [unrolled: 1-line block ×16, first 2 shown]
	v_fmac_f16_e32 v104, v3, v28
	v_fmac_f16_e32 v108, v42, v29
	;; [unrolled: 1-line block ×9, first 2 shown]
	v_fma_f16 v38, v38, v99, -v134
	v_fmac_f16_e32 v136, v98, v99
	v_fma_f16 v2, v2, v24, -v103
	v_fmac_f16_e32 v116, v50, v31
	v_fmac_f16_e32 v132, v96, v23
	;; [unrolled: 1-line block ×4, first 2 shown]
	v_add_f16_e32 v3, v18, v12
	v_add_f16_e32 v19, v14, v37
	v_sub_f16_e32 v43, v18, v14
	v_sub_f16_e32 v44, v12, v37
	v_add_f16_e32 v45, v33, v35
	v_add_f16_e32 v50, v16, v39
	v_sub_f16_e32 v52, v33, v16
	v_sub_f16_e32 v53, v35, v39
	;; [unrolled: 1-line block ×4, first 2 shown]
	v_add_f16_e32 v107, v17, v11
	v_add_f16_e32 v110, v13, v36
	;; [unrolled: 1-line block ×8, first 2 shown]
	v_fmac_f16_e32 v124, v87, v21
	v_sub_f16_e32 v122, v15, v32
	v_sub_f16_e32 v126, v112, v120
	;; [unrolled: 1-line block ×5, first 2 shown]
	v_add_f16_e32 v15, v15, v38
	v_sub_f16_e32 v153, v120, v112
	v_add_f16_e32 v112, v112, v136
	v_fmac_f16_e32 v117, v51, v27
	v_add_f16_e32 v42, v41, v14
	v_add_f16_e32 v51, v2, v16
	v_sub_f16_e32 v114, v13, v17
	v_sub_f16_e32 v140, v32, v34
	;; [unrolled: 1-line block ×5, first 2 shown]
	v_fma_f16 v3, -0.5, v3, v41
	v_fmac_f16_e32 v41, -0.5, v19
	v_add_f16_e32 v19, v43, v44
	v_fma_f16 v43, -0.5, v45, v2
	v_fmac_f16_e32 v2, -0.5, v50
	v_add_f16_e32 v44, v52, v53
	v_add_f16_e32 v50, v95, v96
	v_fma_f16 v53, -0.5, v107, v40
	v_fma_f16 v40, -0.5, v110, v40
	v_add_f16_e32 v17, v111, v17
	v_add_f16_e32 v96, v130, v116
	;; [unrolled: 1-line block ×4, first 2 shown]
	v_fma_f16 v110, -0.5, v135, v1
	v_fma_f16 v111, -0.5, v138, v104
	v_sub_f16_e32 v115, v36, v11
	v_sub_f16_e32 v118, v108, v116
	;; [unrolled: 1-line block ×4, first 2 shown]
	v_add_f16_e32 v143, v116, v124
	v_sub_f16_e32 v144, v108, v132
	v_sub_f16_e32 v149, v116, v108
	v_add_f16_e32 v108, v108, v132
	v_fmac_f16_e32 v1, -0.5, v15
	v_fmac_f16_e32 v104, -0.5, v112
	v_fmac_f16_e32 v125, v91, v5
	v_add_f16_e32 v87, v121, v129
	v_add_f16_e32 v91, v113, v137
	v_sub_f16_e32 v123, v38, v34
	v_sub_f16_e32 v148, v11, v36
	;; [unrolled: 1-line block ×3, first 2 shown]
	v_add_f16_e32 v11, v17, v11
	v_add_f16_e32 v17, v96, v124
	;; [unrolled: 1-line block ×4, first 2 shown]
	v_fmamk_f16 v96, v139, 0xbb9c, v111
	v_fmamk_f16 v107, v141, 0x3b9c, v110
	v_sub_f16_e32 v98, v121, v129
	v_sub_f16_e32 v119, v132, v124
	;; [unrolled: 1-line block ×5, first 2 shown]
	v_add_f16_e32 v52, v114, v115
	v_add_f16_e32 v95, v126, v127
	v_fma_f16 v114, -0.5, v143, v101
	v_fmac_f16_e32 v101, -0.5, v108
	v_fmamk_f16 v124, v142, 0xbb9c, v1
	v_fmamk_f16 v126, v140, 0x3b9c, v104
	v_add_f16_e32 v93, v105, v113
	v_fma_f16 v45, -0.5, v87, v105
	v_fmac_f16_e32 v105, -0.5, v91
	v_add_f16_e32 v91, v122, v123
	v_fmac_f16_e32 v1, 0x3b9c, v142
	v_fmac_f16_e32 v104, 0xbb9c, v140
	v_add_f16_e32 v11, v11, v36
	v_add_f16_e32 v17, v17, v132
	;; [unrolled: 1-line block ×4, first 2 shown]
	v_fmac_f16_e32 v96, 0xb8b4, v140
	v_fmac_f16_e32 v107, 0x38b4, v142
	;; [unrolled: 1-line block ×4, first 2 shown]
	v_sub_f16_e32 v100, v33, v35
	v_sub_f16_e32 v103, v113, v137
	v_add_f16_e32 v15, v151, v152
	v_add_f16_e32 v112, v153, v154
	v_fmamk_f16 v116, v98, 0xbb9c, v2
	v_fmac_f16_e32 v2, 0x3b9c, v98
	v_fmamk_f16 v123, v147, 0x3b9c, v101
	v_fmac_f16_e32 v101, 0xbb9c, v147
	v_fmac_f16_e32 v124, 0x38b4, v141
	;; [unrolled: 1-line block ×3, first 2 shown]
	v_add_f16_e32 v87, v118, v119
	v_fmamk_f16 v119, v144, 0x3b9c, v53
	v_fmamk_f16 v120, v146, 0xbb9c, v114
	v_fmac_f16_e32 v1, 0xb8b4, v141
	v_fmac_f16_e32 v104, 0x38b4, v139
	v_add_f16_e32 v36, v11, v32
	v_add_f16_e32 v38, v17, v34
	v_fmac_f16_e32 v96, 0x34f2, v95
	v_fmac_f16_e32 v107, 0x34f2, v91
	;; [unrolled: 1-line block ×5, first 2 shown]
	v_sub_f16_e32 v97, v117, v125
	v_sub_f16_e32 v106, v16, v39
	v_add_f16_e32 v108, v149, v150
	v_fmamk_f16 v118, v100, 0x3b9c, v105
	v_fmac_f16_e32 v105, 0xbb9c, v100
	v_fmamk_f16 v122, v145, 0xbb9c, v40
	v_fmac_f16_e32 v40, 0x3b9c, v145
	v_fmac_f16_e32 v2, 0xb8b4, v103
	;; [unrolled: 1-line block ×10, first 2 shown]
	v_pack_b32_f16 v15, v36, v38
	v_mul_f16_e32 v36, 0x38b4, v96
	v_mul_f16_e32 v38, 0xb8b4, v107
	v_fmac_f16_e32 v53, 0xbb9c, v144
	v_fmac_f16_e32 v114, 0x3b9c, v146
	;; [unrolled: 1-line block ×4, first 2 shown]
	v_sub_f16_e32 v102, v109, v133
	v_add_f16_e32 v13, v13, v148
	v_fmamk_f16 v115, v97, 0xbb9c, v41
	v_fmac_f16_e32 v41, 0x3b9c, v97
	v_fmac_f16_e32 v105, 0x38b4, v106
	;; [unrolled: 1-line block ×7, first 2 shown]
	v_mul_f16_e32 v108, 0x3b9c, v126
	v_mul_f16_e32 v112, 0xbb9c, v124
	v_fmac_f16_e32 v119, 0x34f2, v52
	v_fmac_f16_e32 v120, 0x34f2, v87
	v_mul_f16_e32 v127, 0xb4f2, v1
	v_mul_f16_e32 v128, 0xb4f2, v104
	v_fmac_f16_e32 v36, 0x3a79, v107
	v_fmac_f16_e32 v38, 0x3a79, v96
	;; [unrolled: 1-line block ×4, first 2 shown]
	v_mul_f16_e32 v91, 0xba79, v110
	v_mul_f16_e32 v95, 0xba79, v111
	v_fmac_f16_e32 v41, 0xb8b4, v102
	v_fmac_f16_e32 v105, 0x34f2, v50
	;; [unrolled: 1-line block ×4, first 2 shown]
	v_mul_f16_e32 v13, 0xb4f2, v2
	v_fmac_f16_e32 v108, 0x34f2, v124
	v_fmac_f16_e32 v112, 0x34f2, v126
	;; [unrolled: 1-line block ×4, first 2 shown]
	v_add_f16_e32 v1, v119, v36
	v_add_f16_e32 v96, v120, v38
	v_fmac_f16_e32 v53, 0x34f2, v52
	v_fmac_f16_e32 v114, 0x34f2, v87
	;; [unrolled: 1-line block ×6, first 2 shown]
	v_add_f16_e32 v107, v122, v108
	v_add_f16_e32 v124, v123, v112
	v_pack_b32_f16 v1, v1, v96
	v_add_f16_e32 v96, v40, v127
	v_add_f16_e32 v52, v101, v128
	v_sub_f16_e32 v11, v11, v32
	v_sub_f16_e32 v17, v17, v34
	v_add_f16_e32 v32, v53, v91
	v_add_f16_e32 v34, v114, v95
	;; [unrolled: 1-line block ×3, first 2 shown]
	v_sub_f16_e32 v13, v41, v13
	v_pack_b32_f16 v41, v107, v124
	v_sub_f16_e32 v36, v119, v36
	v_sub_f16_e32 v87, v122, v108
	;; [unrolled: 1-line block ×4, first 2 shown]
	v_pack_b32_f16 v52, v96, v52
	v_pack_b32_f16 v32, v32, v34
	;; [unrolled: 1-line block ×5, first 2 shown]
	ds_write2_b32 v89, v15, v1 offset1:10
	ds_write2_b32 v89, v41, v52 offset0:20 offset1:30
	ds_write2_b32 v89, v32, v11 offset0:40 offset1:50
	;; [unrolled: 1-line block ×3, first 2 shown]
	v_sub_f16_e32 v1, v40, v127
	v_sub_f16_e32 v11, v101, v128
	;; [unrolled: 1-line block ×3, first 2 shown]
	v_add_f16_e32 v17, v42, v18
	v_sub_f16_e32 v32, v37, v12
	v_sub_f16_e32 v38, v133, v125
	v_pack_b32_f16 v1, v1, v11
	v_sub_f16_e32 v16, v16, v33
	v_add_f16_e32 v11, v17, v12
	v_add_f16_e32 v15, v15, v32
	;; [unrolled: 1-line block ×3, first 2 shown]
	v_sub_f16_e32 v32, v109, v117
	v_sub_f16_e32 v12, v18, v12
	v_add_f16_e32 v11, v11, v37
	v_sub_f16_e32 v14, v14, v37
	v_add_f16_e32 v17, v17, v35
	v_add_f16_e32 v18, v32, v38
	v_sub_f16_e32 v32, v39, v35
	v_fmamk_f16 v38, v103, 0x3b9c, v43
	v_sub_f16_e32 v35, v113, v121
	v_add_f16_e32 v17, v17, v39
	v_sub_f16_e32 v37, v137, v129
	v_add_f16_e32 v16, v16, v32
	v_fmamk_f16 v32, v106, 0xbb9c, v45
	v_fmac_f16_e32 v38, 0x38b4, v98
	v_add_f16_e32 v39, v0, v109
	v_add_f16_e32 v33, v93, v121
	;; [unrolled: 1-line block ×3, first 2 shown]
	v_fmac_f16_e32 v32, 0xb8b4, v100
	v_fmac_f16_e32 v38, 0x34f2, v16
	v_add_f16_e32 v39, v39, v117
	v_add_f16_e32 v33, v33, v129
	v_sub_f16_e32 v34, v53, v91
	v_fmac_f16_e32 v32, 0x34f2, v35
	v_mul_f16_e32 v51, 0xb8b4, v38
	v_add_f16_e32 v39, v39, v125
	v_sub_f16_e32 v36, v114, v95
	v_add_f16_e32 v37, v117, v125
	v_add_f16_e32 v33, v33, v137
	v_mul_f16_e32 v42, 0x38b4, v32
	v_fmac_f16_e32 v51, 0x3a79, v32
	v_add_f16_e32 v32, v39, v133
	v_add_f16_e32 v53, v109, v133
	v_fma_f16 v37, -0.5, v37, v0
	v_fmac_f16_e32 v42, 0x3a79, v38
	v_pack_b32_f16 v34, v34, v36
	v_add_f16_e32 v36, v11, v17
	v_add_f16_e32 v38, v32, v33
	v_fmac_f16_e32 v0, -0.5, v53
	v_fmamk_f16 v40, v102, 0x3b9c, v3
	v_fmamk_f16 v41, v14, 0xbb9c, v37
	ds_write2_b32 v89, v1, v34 offset0:80 offset1:90
	v_pack_b32_f16 v1, v36, v38
	v_lshlrev_b32_sdwa v91, v94, v9 dst_sel:DWORD dst_unused:UNUSED_PAD src0_sel:DWORD src1_sel:WORD_0
	v_sub_f16_e32 v9, v117, v109
	v_sub_f16_e32 v34, v125, v133
	v_fmamk_f16 v36, v12, 0x3b9c, v0
	v_fmac_f16_e32 v0, 0xbb9c, v12
	v_fmac_f16_e32 v118, 0xb8b4, v106
	;; [unrolled: 1-line block ×6, first 2 shown]
	v_add_f16_e32 v9, v9, v34
	v_fmac_f16_e32 v36, 0xb8b4, v14
	v_fmac_f16_e32 v0, 0x38b4, v14
	;; [unrolled: 1-line block ×9, first 2 shown]
	v_mul_f16_e32 v9, 0x3b9c, v118
	v_mul_f16_e32 v19, 0xbb9c, v116
	;; [unrolled: 1-line block ×3, first 2 shown]
	v_fmac_f16_e32 v45, 0x3b9c, v106
	v_add_f16_e32 v39, v40, v42
	v_add_f16_e32 v52, v41, v51
	v_fmac_f16_e32 v43, 0xbb9c, v103
	v_fmac_f16_e32 v9, 0x34f2, v116
	;; [unrolled: 1-line block ×6, first 2 shown]
	v_pack_b32_f16 v10, v39, v52
	v_fmac_f16_e32 v43, 0xb8b4, v98
	v_add_f16_e32 v2, v115, v9
	v_fmac_f16_e32 v37, 0x3b9c, v14
	v_fmac_f16_e32 v45, 0x34f2, v35
	v_add_f16_e32 v14, v36, v19
	v_fmac_f16_e32 v3, 0xb8b4, v97
	v_add_f16_e32 v35, v0, v34
	v_fmac_f16_e32 v43, 0x34f2, v16
	ds_write2_b32 v91, v1, v10 offset1:10
	v_pack_b32_f16 v1, v2, v14
	v_fmac_f16_e32 v3, 0x34f2, v15
	v_pack_b32_f16 v2, v104, v35
	v_lshrrev_b16 v14, 2, v8
	v_mov_b32_e32 v15, 0x147b
	v_fmac_f16_e32 v37, 0x38b4, v12
	v_mul_f16_e32 v12, 0xba79, v43
	v_mul_f16_e32 v16, 0xba79, v45
	ds_write2_b32 v91, v1, v2 offset0:20 offset1:30
	v_sub_f16_e32 v1, v11, v17
	v_mul_u32_u24_sdwa v11, v14, v15 dst_sel:DWORD dst_unused:UNUSED_PAD src0_sel:WORD_0 src1_sel:DWORD
	v_fmac_f16_e32 v37, 0x34f2, v18
	v_fmac_f16_e32 v12, 0x38b4, v45
	;; [unrolled: 1-line block ×3, first 2 shown]
	v_sub_f16_e32 v2, v32, v33
	v_lshrrev_b32_e32 v96, 17, v11
	v_sub_f16_e32 v14, v40, v42
	v_sub_f16_e32 v15, v41, v51
	v_add_f16_e32 v10, v3, v12
	v_add_f16_e32 v18, v37, v16
	v_sub_f16_e32 v3, v3, v12
	v_mul_lo_u16 v12, 0x64, v96
	v_pack_b32_f16 v1, v1, v2
	v_sub_f16_e32 v2, v115, v9
	v_sub_f16_e32 v9, v36, v19
	v_pack_b32_f16 v11, v14, v15
	v_add_nc_u32_e32 v14, 0xffffff9c, v77
	v_pack_b32_f16 v10, v10, v18
	v_sub_nc_u16 v97, v8, v12
	v_sub_f16_e32 v0, v0, v34
	v_sub_f16_e32 v15, v37, v16
	v_pack_b32_f16 v2, v2, v9
	v_cndmask_b32_e32 v95, v14, v77, vcc_lo
	ds_write2_b32 v91, v10, v1 offset0:40 offset1:50
	v_mul_lo_u16 v1, v97, 36
	v_pack_b32_f16 v0, v13, v0
	v_pack_b32_f16 v3, v3, v15
	ds_write2_b32 v91, v11, v2 offset0:60 offset1:70
	v_mul_i32_i24_e32 v2, 36, v95
	v_and_b32_e32 v1, 0xffff, v1
	ds_write2_b32 v91, v0, v3 offset0:80 offset1:90
	v_mul_hi_i32_i24_e32 v0, 36, v95
	v_add_co_u32 v32, vcc_lo, s2, v2
	v_add_co_u32 v34, s0, s2, v1
	v_add_co_ci_u32_e32 v33, vcc_lo, s3, v0, vcc_lo
	v_add_co_ci_u32_e64 v35, null, s3, 0, s0
	s_waitcnt lgkmcnt(0)
	s_barrier
	buffer_gl0_inv
	s_clause 0x5
	global_load_dwordx4 v[16:19], v[32:33], off offset:360
	global_load_dwordx4 v[12:15], v[34:35], off offset:360
	;; [unrolled: 1-line block ×4, first 2 shown]
	global_load_dword v93, v[32:33], off offset:392
	global_load_dword v87, v[34:35], off offset:392
	ds_read2_b32 v[42:43], v86 offset0:16 offset1:216
	ds_read2_b32 v[38:39], v85 offset0:32 offset1:232
	;; [unrolled: 1-line block ×3, first 2 shown]
	ds_read2_b32 v[34:35], v78 offset1:200
	ds_read2_b32 v[32:33], v80 offset0:16 offset1:216
	ds_read2_b32 v[40:41], v74 offset0:32 offset1:232
	;; [unrolled: 1-line block ×3, first 2 shown]
	ds_read2_b32 v[50:51], v70 offset1:200
	ds_read2_b32 v[52:53], v69 offset0:16 offset1:216
	ds_read2_b32 v[102:103], v83 offset1:200
	v_cmp_lt_u16_e32 vcc_lo, 0x63, v46
	s_waitcnt vmcnt(0) lgkmcnt(0)
	s_barrier
	buffer_gl0_inv
	v_cndmask_b32_e64 v46, 0, 0x3e8, vcc_lo
	v_lshrrev_b32_e32 v100, 16, v42
	v_lshrrev_b32_e32 v104, 16, v43
	;; [unrolled: 1-line block ×20, first 2 shown]
	v_add_lshl_u32 v95, v95, v46, 2
	v_mul_f16_sdwa v123, v100, v16 dst_sel:DWORD dst_unused:UNUSED_PAD src0_sel:DWORD src1_sel:WORD_1
	v_mul_f16_sdwa v124, v104, v12 dst_sel:DWORD dst_unused:UNUSED_PAD src0_sel:DWORD src1_sel:WORD_1
	;; [unrolled: 1-line block ×24, first 2 shown]
	v_fma_f16 v123, v42, v16, -v123
	v_fma_f16 v42, v43, v12, -v124
	;; [unrolled: 1-line block ×11, first 2 shown]
	v_fmac_f16_e32 v132, v109, v14
	v_fmac_f16_e32 v140, v113, v0
	;; [unrolled: 1-line block ×4, first 2 shown]
	v_mul_f16_sdwa v126, v106, v17 dst_sel:DWORD dst_unused:UNUSED_PAD src0_sel:DWORD src1_sel:WORD_1
	v_mul_f16_sdwa v127, v107, v13 dst_sel:DWORD dst_unused:UNUSED_PAD src0_sel:DWORD src1_sel:WORD_1
	;; [unrolled: 1-line block ×9, first 2 shown]
	v_fmac_f16_e32 v131, v108, v18
	v_fmac_f16_e32 v139, v112, v8
	;; [unrolled: 1-line block ×5, first 2 shown]
	v_add_f16_e32 v108, v33, v44
	v_add_f16_e32 v109, v37, v52
	v_sub_f16_e32 v111, v33, v37
	v_sub_f16_e32 v112, v44, v52
	;; [unrolled: 1-line block ×4, first 2 shown]
	v_add_f16_e32 v150, v32, v43
	v_mul_f16_sdwa v128, v38, v17 dst_sel:DWORD dst_unused:UNUSED_PAD src0_sel:DWORD src1_sel:WORD_1
	v_mul_f16_sdwa v105, v39, v13 dst_sel:DWORD dst_unused:UNUSED_PAD src0_sel:DWORD src1_sel:WORD_1
	;; [unrolled: 1-line block ×3, first 2 shown]
	v_fma_f16 v38, v38, v17, -v126
	v_fma_f16 v39, v39, v13, -v127
	v_fma_f16 v36, v36, v18, -v129
	v_fma_f16 v34, v34, v19, -v133
	v_fma_f16 v35, v35, v15, -v134
	v_fma_f16 v40, v40, v9, -v141
	v_fma_f16 v41, v41, v1, -v142
	v_fmac_f16_e32 v125, v100, v16
	v_fmac_f16_e32 v135, v110, v19
	;; [unrolled: 1-line block ×5, first 2 shown]
	v_add_f16_e32 v110, v42, v37
	v_add_f16_e32 v113, v140, v148
	;; [unrolled: 1-line block ×3, first 2 shown]
	v_sub_f16_e32 v119, v140, v148
	v_sub_f16_e32 v145, v131, v139
	;; [unrolled: 1-line block ×3, first 2 shown]
	v_add_f16_e32 v149, v139, v147
	v_sub_f16_e32 v157, v131, v155
	v_fma_f16 v108, -0.5, v108, v42
	v_fmac_f16_e32 v42, -0.5, v109
	v_add_f16_e32 v111, v111, v112
	v_add_f16_e32 v112, v116, v117
	v_fma_f16 v117, -0.5, v150, v123
	v_fmac_f16_e32 v105, v107, v13
	v_fmac_f16_e32 v144, v115, v1
	v_add_f16_e32 v53, v35, v41
	v_add_f16_e32 v100, v39, v50
	v_sub_f16_e32 v104, v35, v39
	v_sub_f16_e32 v107, v41, v50
	v_add_f16_e32 v115, v101, v132
	v_sub_f16_e32 v120, v33, v44
	v_sub_f16_e32 v124, v132, v156
	v_add_f16_e32 v127, v34, v40
	v_add_f16_e32 v130, v102, v38
	v_sub_f16_e32 v141, v36, v32
	v_sub_f16_e32 v142, v51, v43
	;; [unrolled: 1-line block ×4, first 2 shown]
	v_fma_f16 v109, -0.5, v113, v101
	v_fmac_f16_e32 v101, -0.5, v114
	v_add_f16_e32 v113, v145, v146
	v_fma_f16 v114, -0.5, v149, v125
	v_fmamk_f16 v116, v119, 0xbb9c, v42
	v_fmac_f16_e32 v42, 0x3b9c, v119
	v_fmamk_f16 v145, v157, 0x3b9c, v117
	v_fmac_f16_e32 v128, v106, v17
	v_fmac_f16_e32 v151, v118, v11
	v_add_f16_e32 v106, v103, v39
	v_sub_f16_e32 v118, v136, v144
	v_sub_f16_e32 v126, v37, v52
	v_add_f16_e32 v129, v38, v45
	v_sub_f16_e32 v154, v32, v43
	v_fma_f16 v53, -0.5, v53, v103
	v_fmac_f16_e32 v103, -0.5, v100
	v_add_f16_e32 v107, v104, v107
	v_fma_f16 v100, -0.5, v127, v102
	v_add_f16_e32 v104, v141, v142
	v_fmamk_f16 v127, v120, 0x3b9c, v101
	v_fmac_f16_e32 v101, 0xbb9c, v120
	v_fmac_f16_e32 v42, 0xb8b4, v124
	v_fmamk_f16 v142, v153, 0xbb9c, v114
	v_fmac_f16_e32 v145, 0x38b4, v158
	v_add_f16_e32 v130, v130, v34
	v_sub_f16_e32 v121, v105, v152
	v_sub_f16_e32 v133, v38, v34
	;; [unrolled: 1-line block ×3, first 2 shown]
	v_fmamk_f16 v141, v118, 0xbb9c, v103
	v_fmac_f16_e32 v103, 0x3b9c, v118
	v_fmac_f16_e32 v101, 0x38b4, v126
	;; [unrolled: 1-line block ×4, first 2 shown]
	v_fma_f16 v129, -0.5, v129, v102
	v_fmac_f16_e32 v145, 0x34f2, v104
	v_add_f16_e32 v130, v130, v40
	v_sub_f16_e32 v162, v135, v143
	v_fmac_f16_e32 v103, 0xb8b4, v121
	v_fmac_f16_e32 v101, 0x34f2, v112
	v_mul_f16_e32 v146, 0xb4f2, v42
	v_fmac_f16_e32 v142, 0x34f2, v113
	v_add_f16_e32 v102, v133, v134
	v_mul_f16_e32 v134, 0xb8b4, v145
	v_sub_f16_e32 v150, v128, v151
	v_sub_f16_e32 v159, v38, v45
	;; [unrolled: 1-line block ×3, first 2 shown]
	v_add_f16_e32 v130, v130, v45
	v_sub_f16_e32 v34, v34, v38
	v_sub_f16_e32 v40, v40, v45
	v_fmamk_f16 v45, v162, 0xbb9c, v129
	v_fmac_f16_e32 v129, 0x3b9c, v162
	v_sub_f16_e32 v137, v128, v135
	v_sub_f16_e32 v138, v151, v143
	v_fmac_f16_e32 v103, 0x34f2, v107
	v_fmac_f16_e32 v146, 0x3b9c, v101
	v_mul_f16_e32 v133, 0x38b4, v142
	v_fmac_f16_e32 v134, 0x3a79, v142
	v_add_f16_e32 v142, v123, v36
	v_add_f16_e32 v149, v135, v143
	v_add_f16_e32 v34, v34, v40
	v_fmac_f16_e32 v45, 0x38b4, v150
	v_fmac_f16_e32 v129, 0xb8b4, v150
	v_add_f16_e32 v40, v128, v151
	v_add_f16_e32 v137, v137, v138
	;; [unrolled: 1-line block ×3, first 2 shown]
	v_sub_f16_e32 v146, v103, v146
	v_add_f16_e32 v103, v122, v128
	v_add_f16_e32 v142, v142, v32
	v_fma_f16 v149, -0.5, v149, v122
	v_fmac_f16_e32 v45, 0x34f2, v34
	v_fmac_f16_e32 v129, 0x34f2, v34
	v_fmac_f16_e32 v122, -0.5, v40
	v_add_f16_e32 v34, v131, v155
	v_add_f16_e32 v40, v36, v51
	v_fmac_f16_e32 v133, 0x3a79, v145
	v_add_f16_e32 v145, v125, v131
	v_add_f16_e32 v142, v142, v43
	v_fmac_f16_e32 v125, -0.5, v34
	v_fmac_f16_e32 v123, -0.5, v40
	v_sub_f16_e32 v32, v32, v36
	v_sub_f16_e32 v36, v43, v51
	v_add_f16_e32 v142, v142, v51
	v_sub_f16_e32 v40, v139, v131
	v_sub_f16_e32 v43, v147, v155
	v_fmamk_f16 v51, v154, 0x3b9c, v125
	v_fmamk_f16 v131, v158, 0xbb9c, v123
	v_fmac_f16_e32 v123, 0x3b9c, v158
	v_fmac_f16_e32 v125, 0xbb9c, v154
	v_add_f16_e32 v32, v32, v36
	v_add_f16_e32 v36, v40, v43
	v_fmac_f16_e32 v117, 0xbb9c, v157
	v_fmac_f16_e32 v123, 0xb8b4, v157
	;; [unrolled: 1-line block ×6, first 2 shown]
	v_add_f16_e32 v103, v103, v135
	v_sub_f16_e32 v128, v135, v128
	v_sub_f16_e32 v135, v143, v151
	v_fmamk_f16 v34, v160, 0x3b9c, v122
	v_fmac_f16_e32 v122, 0xbb9c, v160
	v_fmac_f16_e32 v123, 0x34f2, v32
	;; [unrolled: 1-line block ×7, first 2 shown]
	v_add_f16_e32 v145, v145, v139
	v_fmamk_f16 v161, v150, 0x3b9c, v100
	v_fmamk_f16 v163, v159, 0xbb9c, v149
	v_add_f16_e32 v128, v128, v135
	v_fmac_f16_e32 v122, 0x38b4, v159
	v_mul_f16_e32 v32, 0xb4f2, v123
	v_mul_f16_e32 v36, 0xb4f2, v125
	v_fmac_f16_e32 v100, 0xbb9c, v150
	v_fmac_f16_e32 v149, 0x3b9c, v159
	;; [unrolled: 1-line block ×5, first 2 shown]
	v_mul_f16_e32 v40, 0x3b9c, v51
	v_mul_f16_e32 v43, 0xbb9c, v131
	v_add_f16_e32 v103, v103, v143
	v_add_f16_e32 v145, v145, v147
	v_fmac_f16_e32 v161, 0x38b4, v162
	v_fmac_f16_e32 v163, 0xb8b4, v160
	;; [unrolled: 1-line block ×7, first 2 shown]
	v_mul_f16_e32 v123, 0xba79, v117
	v_mul_f16_e32 v125, 0xba79, v114
	v_fmac_f16_e32 v34, 0x34f2, v128
	v_fmac_f16_e32 v40, 0x34f2, v131
	;; [unrolled: 1-line block ×3, first 2 shown]
	v_add_f16_e32 v103, v103, v151
	v_add_f16_e32 v145, v145, v155
	v_fmac_f16_e32 v161, 0x34f2, v102
	v_fmac_f16_e32 v163, 0x34f2, v137
	v_add_f16_e32 v104, v129, v32
	v_add_f16_e32 v113, v122, v36
	v_fmac_f16_e32 v100, 0x34f2, v102
	v_fmac_f16_e32 v149, 0x34f2, v137
	;; [unrolled: 1-line block ×4, first 2 shown]
	v_add_f16_e32 v51, v45, v40
	v_add_f16_e32 v128, v34, v43
	;; [unrolled: 1-line block ×6, first 2 shown]
	v_pack_b32_f16 v113, v104, v113
	v_sub_f16_e32 v104, v130, v142
	v_sub_f16_e32 v103, v103, v145
	v_add_f16_e32 v114, v100, v123
	v_add_f16_e32 v117, v149, v125
	v_pack_b32_f16 v51, v51, v128
	v_sub_f16_e32 v128, v161, v133
	v_sub_f16_e32 v40, v45, v40
	;; [unrolled: 1-line block ×4, first 2 shown]
	v_pack_b32_f16 v46, v46, v164
	v_pack_b32_f16 v38, v38, v165
	v_add_nc_u32_e32 v102, 0x200, v95
	v_pack_b32_f16 v43, v114, v117
	v_pack_b32_f16 v114, v104, v103
	v_add_nc_u32_e32 v104, 0x400, v95
	v_pack_b32_f16 v45, v128, v45
	v_pack_b32_f16 v34, v40, v34
	v_add_nc_u32_e32 v103, 0x800, v95
	ds_write2_b32 v95, v46, v38 offset1:100
	ds_write2_b32 v102, v51, v113 offset0:72 offset1:172
	ds_write2_b32 v104, v43, v114 offset0:144 offset1:244
	;; [unrolled: 1-line block ×3, first 2 shown]
	v_sub_f16_e32 v32, v129, v32
	v_sub_f16_e32 v34, v100, v123
	;; [unrolled: 1-line block ×4, first 2 shown]
	v_add_f16_e32 v40, v106, v35
	v_sub_f16_e32 v43, v39, v35
	v_sub_f16_e32 v45, v50, v41
	v_pack_b32_f16 v32, v32, v36
	v_pack_b32_f16 v34, v34, v38
	v_add_f16_e32 v36, v40, v41
	v_sub_f16_e32 v40, v105, v136
	v_add_f16_e32 v38, v43, v45
	v_sub_f16_e32 v43, v152, v144
	;; [unrolled: 2-line block ×6, first 2 shown]
	v_sub_f16_e32 v45, v156, v148
	v_add_f16_e32 v50, v98, v105
	v_add_f16_e32 v33, v33, v43
	v_fmamk_f16 v43, v126, 0xbb9c, v109
	v_sub_f16_e32 v35, v35, v41
	v_add_f16_e32 v44, v44, v45
	v_fmamk_f16 v45, v124, 0x3b9c, v108
	v_add_f16_e32 v41, v115, v140
	v_fmac_f16_e32 v43, 0xb8b4, v120
	v_add_f16_e32 v50, v50, v136
	v_add_f16_e32 v37, v37, v52
	v_fmac_f16_e32 v45, 0x38b4, v119
	v_add_f16_e32 v41, v41, v148
	v_fmac_f16_e32 v43, 0x34f2, v44
	v_add_f16_e32 v50, v50, v144
	v_add_f16_e32 v46, v136, v144
	v_fmac_f16_e32 v45, 0x34f2, v33
	v_add_f16_e32 v41, v41, v156
	v_mul_f16_e32 v110, 0x38b4, v43
	v_mad_u16 v51, 0x3e8, v96, v97
	v_add_f16_e32 v97, v105, v152
	v_mul_f16_e32 v113, 0xb8b4, v45
	v_fmac_f16_e32 v108, 0xbb9c, v124
	v_fmac_f16_e32 v110, 0x3a79, v45
	v_add_f16_e32 v45, v50, v152
	v_fmac_f16_e32 v109, 0x3b9c, v126
	v_add_nc_u32_e32 v100, 0xc00, v95
	v_fma_f16 v46, -0.5, v46, v98
	v_fmac_f16_e32 v113, 0x3a79, v43
	v_add_f16_e32 v43, v36, v37
	v_add_f16_e32 v50, v45, v41
	v_fmac_f16_e32 v98, -0.5, v97
	v_fmac_f16_e32 v127, 0xb8b4, v126
	v_fmac_f16_e32 v116, 0x38b4, v124
	;; [unrolled: 1-line block ×4, first 2 shown]
	v_fmamk_f16 v52, v121, 0x3b9c, v53
	v_fmamk_f16 v106, v39, 0xbb9c, v46
	ds_write2_b32 v100, v32, v34 offset0:32 offset1:132
	v_lshlrev_b32_sdwa v94, v94, v51 dst_sel:DWORD dst_unused:UNUSED_PAD src0_sel:DWORD src1_sel:WORD_0
	v_pack_b32_f16 v32, v43, v50
	v_sub_f16_e32 v43, v136, v105
	v_sub_f16_e32 v50, v144, v152
	v_fmamk_f16 v51, v35, 0x3b9c, v98
	v_fmac_f16_e32 v98, 0xbb9c, v35
	v_fmac_f16_e32 v127, 0x34f2, v112
	;; [unrolled: 1-line block ×9, first 2 shown]
	v_add_f16_e32 v43, v43, v50
	v_fmac_f16_e32 v51, 0xb8b4, v39
	v_fmac_f16_e32 v98, 0x38b4, v39
	v_mul_f16_e32 v50, 0x3b9c, v127
	v_mul_f16_e32 v105, 0xbb9c, v116
	v_fmac_f16_e32 v53, 0xb8b4, v118
	v_fmac_f16_e32 v46, 0x38b4, v35
	v_mul_f16_e32 v33, 0xba79, v108
	v_mul_f16_e32 v35, 0xba79, v109
	v_fmac_f16_e32 v52, 0x38b4, v118
	v_fmac_f16_e32 v141, 0x34f2, v107
	;; [unrolled: 1-line block ×6, first 2 shown]
	v_mul_f16_e32 v43, 0xb4f2, v101
	v_fmac_f16_e32 v53, 0x34f2, v38
	v_fmac_f16_e32 v46, 0x34f2, v40
	;; [unrolled: 1-line block ×7, first 2 shown]
	v_add_f16_e32 v39, v141, v50
	v_add_f16_e32 v38, v51, v105
	v_sub_f16_e32 v36, v36, v37
	v_add_f16_e32 v37, v53, v33
	v_add_f16_e32 v42, v46, v35
	v_sub_f16_e32 v41, v45, v41
	v_pack_b32_f16 v44, v39, v38
	v_sub_f16_e32 v38, v52, v110
	v_sub_f16_e32 v39, v141, v50
	v_pack_b32_f16 v37, v37, v42
	v_pack_b32_f16 v36, v36, v41
	v_sub_f16_e32 v41, v106, v113
	v_sub_f16_e32 v42, v51, v105
	v_add_f16_e32 v96, v52, v110
	v_add_f16_e32 v114, v106, v113
	;; [unrolled: 1-line block ×3, first 2 shown]
	v_pack_b32_f16 v41, v38, v41
	v_pack_b32_f16 v42, v39, v42
	v_mad_u64_u32 v[38:39], null, v77, 12, s[2:3]
	v_sub_f16_e32 v33, v53, v33
	v_sub_f16_e32 v43, v98, v43
	;; [unrolled: 1-line block ×3, first 2 shown]
	v_pack_b32_f16 v34, v96, v114
	v_pack_b32_f16 v40, v138, v40
	v_add_nc_u32_e32 v96, 0x200, v94
	v_add_nc_u32_e32 v97, 0x400, v94
	;; [unrolled: 1-line block ×3, first 2 shown]
	v_pack_b32_f16 v43, v146, v43
	v_pack_b32_f16 v33, v33, v35
	v_add_nc_u32_e32 v101, 0xc00, v94
	ds_write2_b32 v94, v32, v34 offset1:100
	ds_write2_b32 v96, v44, v40 offset0:72 offset1:172
	ds_write2_b32 v97, v37, v36 offset0:144 offset1:244
	;; [unrolled: 1-line block ×4, first 2 shown]
	v_add_co_u32 v32, vcc_lo, 0x800, v38
	v_add_co_ci_u32_e32 v33, vcc_lo, 0, v39, vcc_lo
	v_add_co_u32 v35, vcc_lo, 0x1800, v38
	v_add_co_ci_u32_e32 v36, vcc_lo, 0, v39, vcc_lo
	s_waitcnt lgkmcnt(0)
	s_barrier
	buffer_gl0_inv
	s_clause 0x1
	global_load_dwordx3 v[32:34], v[32:33], off offset:1912
	global_load_dwordx3 v[35:37], v[35:36], off offset:216
	v_add_co_u32 v40, vcc_lo, 0x2000, v38
	v_add_co_ci_u32_e32 v41, vcc_lo, 0, v39, vcc_lo
	v_add_nc_u32_e32 v134, 0x300, v83
	v_add_nc_u32_e32 v135, 0x900, v83
	;; [unrolled: 1-line block ×3, first 2 shown]
	global_load_dwordx3 v[44:46], v[40:41], off offset:568
	v_add_co_u32 v40, vcc_lo, 0x2800, v38
	v_add_co_ci_u32_e32 v41, vcc_lo, 0, v39, vcc_lo
	v_add_co_u32 v38, vcc_lo, 0x3000, v38
	v_add_co_ci_u32_e32 v39, vcc_lo, 0, v39, vcc_lo
	global_load_dwordx3 v[41:43], v[40:41], off offset:920
	v_add_nc_u32_e32 v137, 0x1580, v83
	v_add_nc_u32_e32 v138, 0x1c00, v83
	global_load_dwordx3 v[38:40], v[38:39], off offset:1272
	ds_read2_b32 v[50:51], v80 offset0:16 offset1:216
	ds_read2_b32 v[52:53], v83 offset1:200
	ds_read2_b32 v[105:106], v85 offset0:32 offset1:232
	ds_read2_b32 v[107:108], v73 offset0:48 offset1:248
	;; [unrolled: 1-line block ×3, first 2 shown]
	ds_read2_b32 v[111:112], v70 offset1:200
	v_add_nc_u32_e32 v139, 0x2200, v83
	v_add_nc_u32_e32 v140, 0x2800, v83
	;; [unrolled: 1-line block ×3, first 2 shown]
	s_mov_b32 s2, 0xd2f1a9fc
	s_mov_b32 s3, 0x3f30624d
	s_waitcnt lgkmcnt(5)
	v_lshrrev_b32_e32 v113, 16, v50
	v_lshrrev_b32_e32 v114, 16, v51
	s_waitcnt lgkmcnt(3)
	v_lshrrev_b32_e32 v117, 16, v106
	s_waitcnt lgkmcnt(2)
	;; [unrolled: 2-line block ×4, first 2 shown]
	v_lshrrev_b32_e32 v120, 16, v111
	v_lshrrev_b32_e32 v115, 16, v52
	v_lshrrev_b32_e32 v116, 16, v53
	s_waitcnt vmcnt(4)
	v_mul_f16_sdwa v121, v113, v33 dst_sel:DWORD dst_unused:UNUSED_PAD src0_sel:DWORD src1_sel:WORD_1
	s_waitcnt vmcnt(3)
	v_mul_f16_sdwa v122, v114, v36 dst_sel:DWORD dst_unused:UNUSED_PAD src0_sel:DWORD src1_sel:WORD_1
	v_mul_f16_sdwa v123, v50, v33 dst_sel:DWORD dst_unused:UNUSED_PAD src0_sel:DWORD src1_sel:WORD_1
	;; [unrolled: 1-line block ×11, first 2 shown]
	v_fma_f16 v50, v50, v33, -v121
	v_fma_f16 v51, v51, v36, -v122
	v_fmac_f16_e32 v123, v113, v33
	v_fmac_f16_e32 v124, v114, v36
	;; [unrolled: 1-line block ×4, first 2 shown]
	v_fma_f16 v106, v106, v32, -v126
	v_fma_f16 v108, v108, v34, -v128
	v_fmac_f16_e32 v129, v119, v35
	v_fmac_f16_e32 v131, v120, v37
	v_fma_f16 v109, v109, v35, -v130
	v_fma_f16 v111, v111, v37, -v132
	v_sub_f16_e32 v50, v52, v50
	v_sub_f16_e32 v117, v53, v51
	;; [unrolled: 1-line block ×8, first 2 shown]
	v_fma_f16 v52, v52, 2.0, -v50
	v_fma_f16 v53, v53, 2.0, -v117
	;; [unrolled: 1-line block ×4, first 2 shown]
	v_sub_f16_e32 v108, v50, v108
	v_add_f16_e32 v51, v113, v51
	v_fma_f16 v115, v115, 2.0, -v113
	v_fma_f16 v116, v116, 2.0, -v118
	v_fma_f16 v109, v109, 2.0, -v111
	v_fma_f16 v120, v129, 2.0, -v119
	v_fma_f16 v121, v50, 2.0, -v108
	v_fma_f16 v113, v113, 2.0, -v51
	v_sub_f16_e32 v106, v52, v106
	v_sub_f16_e32 v114, v115, v114
	;; [unrolled: 1-line block ×4, first 2 shown]
	v_pack_b32_f16 v123, v108, v51
	ds_read2_b32 v[50:51], v74 offset0:32 offset1:232
	v_fma_f16 v52, v52, 2.0, -v106
	v_fma_f16 v108, v115, 2.0, -v114
	;; [unrolled: 1-line block ×4, first 2 shown]
	v_pack_b32_f16 v115, v121, v113
	v_pack_b32_f16 v106, v106, v114
	;; [unrolled: 1-line block ×3, first 2 shown]
	ds_read2_b32 v[113:114], v69 offset0:16 offset1:216
	v_pack_b32_f16 v121, v53, v109
	ds_read2_b32 v[52:53], v86 offset0:16 offset1:216
	ds_read2_b32 v[108:109], v78 offset1:200
	v_sub_f16_e32 v119, v117, v119
	v_add_f16_e32 v111, v118, v111
	v_lshrrev_b32_e32 v124, 16, v110
	v_lshrrev_b32_e32 v125, 16, v112
	ds_write_b32 v83, v115 offset:4000
	ds_write_b32 v83, v106 offset:8000
	;; [unrolled: 1-line block ×3, first 2 shown]
	ds_write2_b32 v83, v116, v121 offset1:200
	v_fma_f16 v117, v117, 2.0, -v119
	s_waitcnt lgkmcnt(7)
	v_lshrrev_b32_e32 v116, 16, v50
	v_fma_f16 v118, v118, 2.0, -v111
	s_waitcnt vmcnt(2)
	v_mul_f16_sdwa v115, v124, v44 dst_sel:DWORD dst_unused:UNUSED_PAD src0_sel:DWORD src1_sel:WORD_1
	v_mul_f16_sdwa v106, v125, v46 dst_sel:DWORD dst_unused:UNUSED_PAD src0_sel:DWORD src1_sel:WORD_1
	;; [unrolled: 1-line block ×4, first 2 shown]
	v_pack_b32_f16 v117, v117, v118
	v_pack_b32_f16 v118, v122, v120
	v_lshrrev_b32_e32 v120, 16, v51
	v_fma_f16 v115, v110, v44, -v115
	v_fma_f16 v106, v112, v46, -v106
	v_fmac_f16_e32 v121, v116, v45
	v_fma_f16 v50, v50, v45, -v123
	s_waitcnt lgkmcnt(5)
	v_lshrrev_b32_e32 v116, 16, v52
	s_waitcnt vmcnt(1)
	v_mul_f16_sdwa v122, v120, v42 dst_sel:DWORD dst_unused:UNUSED_PAD src0_sel:DWORD src1_sel:WORD_1
	v_mul_f16_sdwa v123, v51, v42 dst_sel:DWORD dst_unused:UNUSED_PAD src0_sel:DWORD src1_sel:WORD_1
	;; [unrolled: 1-line block ×4, first 2 shown]
	v_sub_f16_e32 v121, v116, v121
	v_sub_f16_e32 v106, v115, v106
	v_fma_f16 v51, v51, v42, -v122
	v_fmac_f16_e32 v123, v120, v42
	s_waitcnt lgkmcnt(4)
	v_lshrrev_b32_e32 v120, 16, v108
	v_lshrrev_b32_e32 v122, 16, v113
	v_fmac_f16_e32 v110, v124, v44
	v_fmac_f16_e32 v112, v125, v46
	v_add_f16_e32 v124, v121, v106
	v_fma_f16 v106, v115, 2.0, -v106
	v_mul_f16_sdwa v115, v108, v41 dst_sel:DWORD dst_unused:UNUSED_PAD src0_sel:DWORD src1_sel:WORD_1
	v_mul_f16_sdwa v125, v120, v41 dst_sel:DWORD dst_unused:UNUSED_PAD src0_sel:DWORD src1_sel:WORD_1
	;; [unrolled: 1-line block ×4, first 2 shown]
	v_sub_f16_e32 v50, v52, v50
	v_sub_f16_e32 v112, v110, v112
	v_lshrrev_b32_e32 v128, 16, v53
	v_fmac_f16_e32 v115, v120, v41
	v_fma_f16 v108, v108, v41, -v125
	v_fma_f16 v113, v113, v43, -v126
	v_fmac_f16_e32 v127, v122, v43
	v_pack_b32_f16 v111, v119, v111
	v_sub_f16_e32 v119, v50, v112
	v_fma_f16 v110, v110, 2.0, -v112
	v_sub_f16_e32 v51, v53, v51
	v_sub_f16_e32 v112, v128, v123
	;; [unrolled: 1-line block ×4, first 2 shown]
	v_fma_f16 v116, v116, 2.0, -v121
	v_fma_f16 v52, v52, 2.0, -v50
	;; [unrolled: 1-line block ×6, first 2 shown]
	v_sub_f16_e32 v106, v52, v106
	v_sub_f16_e32 v110, v116, v110
	v_fma_f16 v50, v50, 2.0, -v119
	v_sub_f16_e32 v108, v53, v108
	v_sub_f16_e32 v115, v122, v115
	v_fma_f16 v121, v121, 2.0, -v124
	v_fma_f16 v52, v52, 2.0, -v106
	;; [unrolled: 1-line block ×5, first 2 shown]
	v_pack_b32_f16 v50, v50, v121
	ds_write_b32 v83, v118 offset:8800
	ds_write_b32 v83, v111 offset:12800
	v_pack_b32_f16 v52, v52, v116
	v_pack_b32_f16 v106, v106, v110
	;; [unrolled: 1-line block ×3, first 2 shown]
	ds_write2_b32 v84, v117, v50 offset0:48 offset1:248
	v_lshrrev_b32_e32 v50, 16, v109
	v_pack_b32_f16 v108, v108, v115
	v_lshrrev_b32_e32 v110, 16, v114
	ds_write2_b32 v86, v52, v53 offset0:16 offset1:216
	v_lshrrev_b32_e32 v52, 16, v107
	s_waitcnt vmcnt(0)
	v_mul_f16_sdwa v53, v50, v38 dst_sel:DWORD dst_unused:UNUSED_PAD src0_sel:DWORD src1_sel:WORD_1
	ds_write2_b32 v74, v106, v108 offset0:32 offset1:232
	v_mul_f16_sdwa v111, v110, v40 dst_sel:DWORD dst_unused:UNUSED_PAD src0_sel:DWORD src1_sel:WORD_1
	v_mul_f16_sdwa v115, v107, v39 dst_sel:DWORD dst_unused:UNUSED_PAD src0_sel:DWORD src1_sel:WORD_1
	;; [unrolled: 1-line block ×3, first 2 shown]
	v_fma_f16 v53, v109, v38, -v53
	v_mul_f16_sdwa v109, v109, v38 dst_sel:DWORD dst_unused:UNUSED_PAD src0_sel:DWORD src1_sel:WORD_1
	v_fma_f16 v111, v114, v40, -v111
	v_fmac_f16_e32 v115, v52, v39
	v_fma_f16 v107, v107, v39, -v108
	v_mul_f16_sdwa v108, v114, v40 dst_sel:DWORD dst_unused:UNUSED_PAD src0_sel:DWORD src1_sel:WORD_1
	v_lshrrev_b32_e32 v52, 16, v105
	v_fmac_f16_e32 v109, v50, v38
	v_sub_f16_e32 v111, v53, v111
	v_sub_f16_e32 v107, v105, v107
	v_fmac_f16_e32 v108, v110, v40
	v_sub_f16_e32 v110, v52, v115
	v_sub_f16_e32 v50, v51, v120
	v_fma_f16 v53, v53, 2.0, -v111
	v_fma_f16 v105, v105, 2.0, -v107
	v_sub_f16_e32 v108, v109, v108
	v_fma_f16 v52, v52, 2.0, -v110
	v_add_f16_e32 v113, v112, v113
	v_add_f16_e32 v111, v110, v111
	v_sub_f16_e32 v53, v105, v53
	v_fma_f16 v109, v109, 2.0, -v108
	v_sub_f16_e32 v108, v107, v108
	v_fma_f16 v51, v51, 2.0, -v50
	v_fma_f16 v112, v112, 2.0, -v113
	v_fma_f16 v110, v110, 2.0, -v111
	v_sub_f16_e32 v109, v52, v109
	v_fma_f16 v107, v107, 2.0, -v108
	v_fma_f16 v114, v105, 2.0, -v53
	v_pack_b32_f16 v106, v119, v124
	v_pack_b32_f16 v50, v50, v113
	v_fma_f16 v52, v52, 2.0, -v109
	v_add_nc_u32_e32 v105, 0x3500, v83
	v_pack_b32_f16 v51, v51, v112
	v_pack_b32_f16 v107, v107, v110
	;; [unrolled: 1-line block ×5, first 2 shown]
	ds_write2_b32 v105, v106, v50 offset0:8 offset1:208
	ds_write2_b32 v78, v51, v107 offset1:200
	ds_write_b32 v83, v52 offset:3200
	ds_write_b32 v83, v53 offset:11200
	;; [unrolled: 1-line block ×3, first 2 shown]
	s_waitcnt lgkmcnt(0)
	s_barrier
	buffer_gl0_inv
	global_load_dword v108, v[48:49], off offset:1664
	v_add_co_u32 v48, vcc_lo, 0x3e80, v54
	v_add_co_ci_u32_e32 v49, vcc_lo, 0, v55, vcc_lo
	v_add_co_u32 v50, vcc_lo, 0x4000, v54
	v_add_co_ci_u32_e32 v51, vcc_lo, 0, v55, vcc_lo
	s_clause 0x1
	global_load_dword v109, v[48:49], off offset:800
	global_load_dword v116, v[50:51], off offset:2016
	v_add_co_u32 v50, vcc_lo, 0x4800, v54
	v_add_co_ci_u32_e32 v51, vcc_lo, 0, v55, vcc_lo
	v_add_co_u32 v52, vcc_lo, 0x5000, v54
	v_add_co_ci_u32_e32 v53, vcc_lo, 0, v55, vcc_lo
	;; [unrolled: 2-line block ×3, first 2 shown]
	s_clause 0x5
	global_load_dword v117, v[48:49], off offset:1600
	global_load_dword v118, v[50:51], off offset:768
	;; [unrolled: 1-line block ×6, first 2 shown]
	v_add_co_u32 v48, vcc_lo, 0x6000, v54
	v_add_co_ci_u32_e32 v49, vcc_lo, 0, v55, vcc_lo
	v_add_co_u32 v50, vcc_lo, 0x6800, v54
	v_add_co_ci_u32_e32 v51, vcc_lo, 0, v55, vcc_lo
	s_clause 0x6
	global_load_dword v123, v[106:107], off offset:672
	global_load_dword v124, v[106:107], off offset:1472
	;; [unrolled: 1-line block ×7, first 2 shown]
	v_add_co_u32 v48, vcc_lo, 0x7000, v54
	v_add_co_ci_u32_e32 v49, vcc_lo, 0, v55, vcc_lo
	v_add_co_u32 v50, vcc_lo, 0x7800, v54
	v_add_co_ci_u32_e32 v51, vcc_lo, 0, v55, vcc_lo
	s_clause 0x3
	global_load_dword v130, v[48:49], off offset:128
	global_load_dword v131, v[48:49], off offset:928
	;; [unrolled: 1-line block ×4, first 2 shown]
	ds_read2_b32 v[48:49], v83 offset1:200
	s_waitcnt lgkmcnt(0)
	v_lshrrev_b32_e32 v50, 16, v48
	v_lshrrev_b32_e32 v54, 16, v49
	s_waitcnt vmcnt(19)
	v_mul_f16_sdwa v51, v48, v108 dst_sel:DWORD dst_unused:UNUSED_PAD src0_sel:DWORD src1_sel:WORD_1
	v_mul_f16_sdwa v52, v50, v108 dst_sel:DWORD dst_unused:UNUSED_PAD src0_sel:DWORD src1_sel:WORD_1
	v_fmac_f16_e32 v51, v50, v108
	v_fma_f16 v48, v48, v108, -v52
	s_waitcnt vmcnt(18)
	v_mul_f16_sdwa v106, v49, v109 dst_sel:DWORD dst_unused:UNUSED_PAD src0_sel:DWORD src1_sel:WORD_1
	v_pack_b32_f16 v48, v48, v51
	v_fmac_f16_e32 v106, v54, v109
	ds_write_b32 v83, v48
	v_mul_f16_sdwa v48, v54, v109 dst_sel:DWORD dst_unused:UNUSED_PAD src0_sel:DWORD src1_sel:WORD_1
	ds_read2_b32 v[50:51], v86 offset0:16 offset1:216
	ds_read2_b32 v[52:53], v85 offset0:32 offset1:232
	ds_read2_b32 v[54:55], v78 offset1:200
	v_fma_f16 v107, v49, v109, -v48
	ds_read2_b32 v[48:49], v84 offset0:48 offset1:248
	v_pack_b32_f16 v142, v107, v106
	ds_read2_b32 v[106:107], v80 offset0:16 offset1:216
	ds_read2_b32 v[108:109], v74 offset0:32 offset1:232
	;; [unrolled: 1-line block ×3, first 2 shown]
	ds_read2_b32 v[112:113], v70 offset1:200
	ds_read2_b32 v[114:115], v69 offset0:16 offset1:216
	s_waitcnt lgkmcnt(8)
	v_lshrrev_b32_e32 v143, 16, v50
	s_waitcnt vmcnt(16)
	v_mul_f16_sdwa v144, v50, v117 dst_sel:DWORD dst_unused:UNUSED_PAD src0_sel:DWORD src1_sel:WORD_1
	v_lshrrev_b32_e32 v145, 16, v51
	v_mul_f16_sdwa v146, v51, v116 dst_sel:DWORD dst_unused:UNUSED_PAD src0_sel:DWORD src1_sel:WORD_1
	s_waitcnt lgkmcnt(7)
	v_lshrrev_b32_e32 v147, 16, v52
	v_lshrrev_b32_e32 v148, 16, v53
	s_waitcnt vmcnt(15)
	v_mul_f16_sdwa v149, v52, v118 dst_sel:DWORD dst_unused:UNUSED_PAD src0_sel:DWORD src1_sel:WORD_1
	s_waitcnt lgkmcnt(5)
	v_lshrrev_b32_e32 v151, 16, v48
	s_waitcnt vmcnt(14)
	v_mul_f16_sdwa v150, v53, v119 dst_sel:DWORD dst_unused:UNUSED_PAD src0_sel:DWORD src1_sel:WORD_1
	s_waitcnt vmcnt(13)
	v_mul_f16_sdwa v152, v48, v120 dst_sel:DWORD dst_unused:UNUSED_PAD src0_sel:DWORD src1_sel:WORD_1
	v_lshrrev_b32_e32 v153, 16, v49
	v_lshrrev_b32_e32 v155, 16, v54
	s_waitcnt vmcnt(12)
	v_mul_f16_sdwa v154, v49, v121 dst_sel:DWORD dst_unused:UNUSED_PAD src0_sel:DWORD src1_sel:WORD_1
	v_lshrrev_b32_e32 v156, 16, v55
	s_waitcnt vmcnt(11)
	v_mul_f16_sdwa v157, v54, v122 dst_sel:DWORD dst_unused:UNUSED_PAD src0_sel:DWORD src1_sel:WORD_1
	s_waitcnt vmcnt(10)
	v_mul_f16_sdwa v158, v55, v123 dst_sel:DWORD dst_unused:UNUSED_PAD src0_sel:DWORD src1_sel:WORD_1
	s_waitcnt lgkmcnt(4)
	v_lshrrev_b32_e32 v159, 16, v106
	s_waitcnt vmcnt(9)
	v_mul_f16_sdwa v160, v106, v124 dst_sel:DWORD dst_unused:UNUSED_PAD src0_sel:DWORD src1_sel:WORD_1
	v_lshrrev_b32_e32 v161, 16, v107
	s_waitcnt vmcnt(8)
	v_mul_f16_sdwa v162, v107, v125 dst_sel:DWORD dst_unused:UNUSED_PAD src0_sel:DWORD src1_sel:WORD_1
	s_waitcnt lgkmcnt(3)
	v_lshrrev_b32_e32 v163, 16, v108
	v_lshrrev_b32_e32 v164, 16, v109
	s_waitcnt vmcnt(7)
	v_mul_f16_sdwa v165, v108, v126 dst_sel:DWORD dst_unused:UNUSED_PAD src0_sel:DWORD src1_sel:WORD_1
	s_waitcnt vmcnt(6)
	v_mul_f16_sdwa v166, v109, v127 dst_sel:DWORD dst_unused:UNUSED_PAD src0_sel:DWORD src1_sel:WORD_1
	s_waitcnt lgkmcnt(2)
	v_lshrrev_b32_e32 v167, 16, v110
	s_waitcnt vmcnt(5)
	v_mul_f16_sdwa v168, v110, v128 dst_sel:DWORD dst_unused:UNUSED_PAD src0_sel:DWORD src1_sel:WORD_1
	v_lshrrev_b32_e32 v169, 16, v111
	s_waitcnt vmcnt(4)
	v_mul_f16_sdwa v170, v111, v129 dst_sel:DWORD dst_unused:UNUSED_PAD src0_sel:DWORD src1_sel:WORD_1
	s_waitcnt lgkmcnt(1)
	v_lshrrev_b32_e32 v171, 16, v112
	v_lshrrev_b32_e32 v172, 16, v113
	s_waitcnt vmcnt(3)
	v_mul_f16_sdwa v173, v112, v130 dst_sel:DWORD dst_unused:UNUSED_PAD src0_sel:DWORD src1_sel:WORD_1
	s_waitcnt vmcnt(2)
	v_mul_f16_sdwa v174, v113, v131 dst_sel:DWORD dst_unused:UNUSED_PAD src0_sel:DWORD src1_sel:WORD_1
	s_waitcnt lgkmcnt(0)
	v_lshrrev_b32_e32 v175, 16, v114
	v_lshrrev_b32_e32 v176, 16, v115
	v_mul_f16_sdwa v179, v143, v117 dst_sel:DWORD dst_unused:UNUSED_PAD src0_sel:DWORD src1_sel:WORD_1
	v_fmac_f16_e32 v144, v143, v117
	v_mul_f16_sdwa v143, v145, v116 dst_sel:DWORD dst_unused:UNUSED_PAD src0_sel:DWORD src1_sel:WORD_1
	v_fmac_f16_e32 v146, v145, v116
	v_mul_f16_sdwa v145, v147, v118 dst_sel:DWORD dst_unused:UNUSED_PAD src0_sel:DWORD src1_sel:WORD_1
	v_mul_f16_sdwa v180, v148, v119 dst_sel:DWORD dst_unused:UNUSED_PAD src0_sel:DWORD src1_sel:WORD_1
	v_fmac_f16_e32 v149, v147, v118
	v_mul_f16_sdwa v147, v151, v120 dst_sel:DWORD dst_unused:UNUSED_PAD src0_sel:DWORD src1_sel:WORD_1
	v_fmac_f16_e32 v150, v148, v119
	v_fmac_f16_e32 v152, v151, v120
	v_mul_f16_sdwa v148, v153, v121 dst_sel:DWORD dst_unused:UNUSED_PAD src0_sel:DWORD src1_sel:WORD_1
	v_mul_f16_sdwa v151, v155, v122 dst_sel:DWORD dst_unused:UNUSED_PAD src0_sel:DWORD src1_sel:WORD_1
	s_waitcnt vmcnt(0)
	v_mul_f16_sdwa v177, v114, v133 dst_sel:DWORD dst_unused:UNUSED_PAD src0_sel:DWORD src1_sel:WORD_1
	v_mul_f16_sdwa v178, v115, v132 dst_sel:DWORD dst_unused:UNUSED_PAD src0_sel:DWORD src1_sel:WORD_1
	v_fmac_f16_e32 v154, v153, v121
	v_mul_f16_sdwa v153, v156, v123 dst_sel:DWORD dst_unused:UNUSED_PAD src0_sel:DWORD src1_sel:WORD_1
	v_fmac_f16_e32 v157, v155, v122
	v_fmac_f16_e32 v158, v156, v123
	v_mul_f16_sdwa v155, v159, v124 dst_sel:DWORD dst_unused:UNUSED_PAD src0_sel:DWORD src1_sel:WORD_1
	v_fmac_f16_e32 v160, v159, v124
	v_mul_f16_sdwa v156, v161, v125 dst_sel:DWORD dst_unused:UNUSED_PAD src0_sel:DWORD src1_sel:WORD_1
	;; [unrolled: 2-line block ×3, first 2 shown]
	v_mul_f16_sdwa v161, v164, v127 dst_sel:DWORD dst_unused:UNUSED_PAD src0_sel:DWORD src1_sel:WORD_1
	v_fmac_f16_e32 v165, v163, v126
	v_fmac_f16_e32 v166, v164, v127
	v_mul_f16_sdwa v163, v167, v128 dst_sel:DWORD dst_unused:UNUSED_PAD src0_sel:DWORD src1_sel:WORD_1
	v_fmac_f16_e32 v168, v167, v128
	v_mul_f16_sdwa v164, v169, v129 dst_sel:DWORD dst_unused:UNUSED_PAD src0_sel:DWORD src1_sel:WORD_1
	;; [unrolled: 2-line block ×3, first 2 shown]
	v_mul_f16_sdwa v169, v172, v131 dst_sel:DWORD dst_unused:UNUSED_PAD src0_sel:DWORD src1_sel:WORD_1
	v_fmac_f16_e32 v173, v171, v130
	v_fmac_f16_e32 v174, v172, v131
	v_mul_f16_sdwa v171, v175, v133 dst_sel:DWORD dst_unused:UNUSED_PAD src0_sel:DWORD src1_sel:WORD_1
	v_mul_f16_sdwa v172, v176, v132 dst_sel:DWORD dst_unused:UNUSED_PAD src0_sel:DWORD src1_sel:WORD_1
	v_fma_f16 v50, v50, v117, -v179
	v_fma_f16 v51, v51, v116, -v143
	;; [unrolled: 1-line block ×7, first 2 shown]
	v_fmac_f16_e32 v177, v175, v133
	v_fmac_f16_e32 v178, v176, v132
	v_fma_f16 v55, v55, v123, -v153
	v_fma_f16 v106, v106, v124, -v155
	;; [unrolled: 1-line block ×11, first 2 shown]
	v_pack_b32_f16 v50, v50, v144
	v_pack_b32_f16 v52, v52, v149
	;; [unrolled: 1-line block ×18, first 2 shown]
	ds_write2_b32 v134, v142, v50 offset0:8 offset1:208
	ds_write2_b32 v135, v51, v52 offset0:24 offset1:224
	ds_write2_b32 v136, v53, v48 offset0:40 offset1:240
	ds_write2_b32 v137, v49, v54 offset0:24 offset1:224
	ds_write2_b32 v138, v55, v106 offset0:8 offset1:208
	ds_write2_b32 v139, v107, v108 offset0:24 offset1:224
	ds_write2_b32 v140, v109, v110 offset0:40 offset1:240
	ds_write2_b32 v141, v111, v112 offset0:24 offset1:224
	ds_write2_b32 v105, v113, v114 offset0:8 offset1:208
	ds_write_b32 v83, v115 offset:15200
	s_waitcnt lgkmcnt(0)
	s_barrier
	buffer_gl0_inv
	ds_read2_b32 v[48:49], v74 offset0:32 offset1:232
	ds_read2_b32 v[50:51], v70 offset1:200
	ds_read2_b32 v[106:107], v85 offset0:32 offset1:232
	ds_read2_b32 v[108:109], v78 offset1:200
	ds_read2_b32 v[54:55], v83 offset1:200
	ds_read2_b32 v[110:111], v73 offset0:48 offset1:248
	ds_read2_b32 v[52:53], v69 offset0:16 offset1:216
	;; [unrolled: 1-line block ×5, first 2 shown]
	s_waitcnt lgkmcnt(0)
	s_barrier
	buffer_gl0_inv
	v_sub_f16_e32 v118, v48, v50
	v_sub_f16_sdwa v124, v48, v50 dst_sel:DWORD dst_unused:UNUSED_PAD src0_sel:WORD_1 src1_sel:WORD_1
	v_sub_f16_e32 v119, v108, v106
	v_sub_f16_sdwa v123, v108, v106 dst_sel:DWORD dst_unused:UNUSED_PAD src0_sel:WORD_1 src1_sel:WORD_1
	v_add_f16_sdwa v120, v108, v48 dst_sel:DWORD dst_unused:UNUSED_PAD src0_sel:WORD_1 src1_sel:WORD_1
	v_lshrrev_b32_e32 v122, 16, v54
	v_add_f16_sdwa v129, v112, v52 dst_sel:DWORD dst_unused:UNUSED_PAD src0_sel:WORD_1 src1_sel:WORD_1
	v_add_f16_sdwa v127, v114, v110 dst_sel:DWORD dst_unused:UNUSED_PAD src0_sel:WORD_1 src1_sel:WORD_1
	v_lshrrev_b32_e32 v128, 16, v116
	v_add_f16_sdwa v121, v106, v50 dst_sel:DWORD dst_unused:UNUSED_PAD src0_sel:WORD_1 src1_sel:WORD_1
	v_sub_f16_e32 v125, v110, v52
	v_sub_f16_e32 v126, v114, v112
	v_sub_f16_sdwa v130, v114, v112 dst_sel:DWORD dst_unused:UNUSED_PAD src0_sel:WORD_1 src1_sel:WORD_1
	v_sub_f16_sdwa v131, v110, v52 dst_sel:DWORD dst_unused:UNUSED_PAD src0_sel:WORD_1 src1_sel:WORD_1
	v_add_f16_e32 v137, v112, v52
	v_sub_f16_e32 v140, v114, v110
	v_add_f16_e32 v118, v119, v118
	v_add_f16_e32 v119, v123, v124
	v_fma_f16 v124, -0.5, v127, v128
	v_fmac_f16_e32 v128, -0.5, v129
	v_add_f16_e32 v132, v106, v50
	v_sub_f16_sdwa v138, v114, v110 dst_sel:DWORD dst_unused:UNUSED_PAD src0_sel:WORD_1 src1_sel:WORD_1
	v_sub_f16_e32 v141, v112, v52
	v_fma_f16 v148, -0.5, v120, v122
	v_fmac_f16_e32 v122, -0.5, v121
	v_add_f16_e32 v120, v126, v125
	v_add_f16_e32 v121, v130, v131
	v_fma_f16 v125, -0.5, v137, v116
	v_fmamk_f16 v130, v140, 0xbb9c, v128
	v_fmac_f16_e32 v128, 0x3b9c, v140
	v_sub_f16_sdwa v133, v108, v48 dst_sel:DWORD dst_unused:UNUSED_PAD src0_sel:WORD_1 src1_sel:WORD_1
	v_sub_f16_e32 v135, v108, v48
	v_sub_f16_sdwa v139, v112, v52 dst_sel:DWORD dst_unused:UNUSED_PAD src0_sel:WORD_1 src1_sel:WORD_1
	v_fma_f16 v123, -0.5, v132, v54
	v_fmamk_f16 v129, v138, 0x3b9c, v125
	v_fmac_f16_e32 v125, 0xbb9c, v138
	v_fmac_f16_e32 v128, 0xb8b4, v141
	;; [unrolled: 1-line block ×3, first 2 shown]
	v_sub_f16_sdwa v134, v106, v50 dst_sel:DWORD dst_unused:UNUSED_PAD src0_sel:WORD_1 src1_sel:WORD_1
	v_sub_f16_e32 v136, v106, v50
	v_fmamk_f16 v126, v133, 0x3b9c, v123
	v_fmac_f16_e32 v123, 0xbb9c, v133
	v_fmamk_f16 v127, v135, 0xbb9c, v122
	v_fmac_f16_e32 v122, 0x3b9c, v135
	v_fmac_f16_e32 v129, 0xb8b4, v139
	;; [unrolled: 1-line block ×11, first 2 shown]
	v_mul_f16_e32 v131, 0xbb9c, v128
	v_mul_f16_e32 v128, 0xb4f2, v128
	;; [unrolled: 1-line block ×4, first 2 shown]
	v_add_f16_e32 v147, v114, v110
	v_fmac_f16_e32 v126, 0x34f2, v118
	v_fmac_f16_e32 v123, 0x34f2, v118
	;; [unrolled: 1-line block ×8, first 2 shown]
	v_sub_f16_sdwa v146, v112, v114 dst_sel:DWORD dst_unused:UNUSED_PAD src0_sel:WORD_1 src1_sel:WORD_1
	v_sub_f16_sdwa v120, v52, v110 dst_sel:DWORD dst_unused:UNUSED_PAD src0_sel:WORD_1 src1_sel:WORD_1
	v_add_f16_e32 v118, v123, v131
	v_add_f16_e32 v119, v122, v128
	;; [unrolled: 1-line block ×4, first 2 shown]
	v_fma_f16 v137, -0.5, v147, v116
	v_sub_f16_e32 v145, v52, v110
	v_add_f16_e32 v129, v108, v48
	v_fmamk_f16 v147, v141, 0x3b9c, v124
	v_pack_b32_f16 v119, v118, v119
	v_pack_b32_f16 v118, v121, v125
	v_sub_f16_e32 v121, v112, v114
	v_add_f16_e32 v125, v146, v120
	v_fmamk_f16 v120, v139, 0xbb9c, v137
	v_fmac_f16_e32 v147, 0x38b4, v140
	v_fma_f16 v129, -0.5, v129, v54
	v_add_f16_e32 v145, v121, v145
	v_sub_f16_e32 v142, v50, v48
	v_fmac_f16_e32 v120, 0xb8b4, v138
	v_sub_f16_e32 v143, v106, v108
	v_sub_f16_sdwa v144, v106, v108 dst_sel:DWORD dst_unused:UNUSED_PAD src0_sel:WORD_1 src1_sel:WORD_1
	v_sub_f16_sdwa v121, v50, v48 dst_sel:DWORD dst_unused:UNUSED_PAD src0_sel:WORD_1 src1_sel:WORD_1
	v_fmac_f16_e32 v147, 0x34f2, v125
	v_fmamk_f16 v146, v134, 0xbb9c, v129
	v_fmac_f16_e32 v120, 0x34f2, v145
	v_pk_add_f16 v54, v54, v106
	v_fmamk_f16 v106, v136, 0x3b9c, v148
	v_pk_add_f16 v112, v116, v112
	v_fmac_f16_e32 v124, 0xbb9c, v141
	v_add_f16_e32 v142, v143, v142
	v_add_f16_e32 v143, v144, v121
	v_mul_f16_e32 v121, 0xb8b4, v147
	v_fmac_f16_e32 v146, 0xb8b4, v133
	v_mul_f16_e32 v116, 0x38b4, v120
	v_pk_add_f16 v54, v54, v108
	v_fmac_f16_e32 v106, 0x38b4, v135
	v_pk_add_f16 v108, v112, v114
	v_fmac_f16_e32 v137, 0x3b9c, v139
	v_fmac_f16_e32 v124, 0xb8b4, v140
	;; [unrolled: 1-line block ×5, first 2 shown]
	v_pk_add_f16 v48, v54, v48
	v_fmac_f16_e32 v106, 0x34f2, v143
	v_pk_add_f16 v54, v108, v110
	v_fmac_f16_e32 v129, 0x3b9c, v134
	v_fmac_f16_e32 v148, 0xbb9c, v136
	;; [unrolled: 1-line block ×4, first 2 shown]
	v_add_f16_e32 v108, v146, v121
	v_pk_add_f16 v48, v48, v50
	v_add_f16_e32 v50, v106, v116
	v_pk_add_f16 v52, v54, v52
	v_fmac_f16_e32 v129, 0x38b4, v133
	v_fmac_f16_e32 v148, 0xb8b4, v135
	;; [unrolled: 1-line block ×3, first 2 shown]
	v_mul_f16_e32 v110, 0xb8b4, v124
	v_mul_f16_e32 v112, 0xba79, v124
	v_sub_f16_e32 v54, v146, v121
	v_pack_b32_f16 v121, v108, v50
	v_pk_add_f16 v120, v48, v52
	v_sub_f16_e32 v50, v126, v132
	v_sub_f16_e32 v108, v127, v130
	;; [unrolled: 1-line block ×3, first 2 shown]
	v_fmac_f16_e32 v129, 0x34f2, v142
	v_fmac_f16_e32 v148, 0x34f2, v143
	;; [unrolled: 1-line block ×4, first 2 shown]
	v_pk_add_f16 v114, v55, v107
	v_add_f16_e32 v116, v107, v51
	ds_write2_b64 v88, v[120:121], v[118:119] offset1:1
	v_pack_b32_f16 v119, v50, v108
	v_pack_b32_f16 v118, v54, v106
	v_add_f16_e32 v50, v129, v110
	v_add_f16_e32 v54, v148, v112
	v_sub_f16_e32 v106, v123, v131
	v_sub_f16_e32 v108, v129, v110
	;; [unrolled: 1-line block ×4, first 2 shown]
	v_pk_add_f16 v121, v48, v52 neg_lo:[0,1] neg_hi:[0,1]
	v_pk_add_f16 v48, v114, v109
	v_sub_f16_sdwa v52, v109, v49 dst_sel:DWORD dst_unused:UNUSED_PAD src0_sel:WORD_1 src1_sel:WORD_1
	v_fma_f16 v116, -0.5, v116, v55
	v_pack_b32_f16 v120, v50, v54
	v_pack_b32_f16 v122, v106, v112
	v_add_f16_e32 v50, v109, v49
	v_sub_f16_e32 v106, v109, v107
	v_sub_f16_sdwa v114, v107, v51 dst_sel:DWORD dst_unused:UNUSED_PAD src0_sel:WORD_1 src1_sel:WORD_1
	v_pk_add_f16 v48, v48, v49
	v_pk_add_f16 v126, v117, v113
	v_sub_f16_e32 v127, v49, v51
	v_fmamk_f16 v140, v52, 0x3b9c, v116
	v_fmac_f16_e32 v116, 0xbb9c, v52
	v_pack_b32_f16 v123, v108, v110
	v_sub_f16_e32 v54, v107, v109
	v_add_f16_sdwa v108, v109, v49 dst_sel:DWORD dst_unused:UNUSED_PAD src0_sel:WORD_1 src1_sel:WORD_1
	v_sub_f16_e32 v110, v109, v49
	v_sub_f16_sdwa v112, v107, v109 dst_sel:DWORD dst_unused:UNUSED_PAD src0_sel:WORD_1 src1_sel:WORD_1
	v_sub_f16_sdwa v109, v109, v107 dst_sel:DWORD dst_unused:UNUSED_PAD src0_sel:WORD_1 src1_sel:WORD_1
	v_sub_f16_e32 v124, v107, v51
	v_add_f16_sdwa v107, v107, v51 dst_sel:DWORD dst_unused:UNUSED_PAD src0_sel:WORD_1 src1_sel:WORD_1
	v_sub_f16_e32 v125, v51, v49
	v_sub_f16_sdwa v128, v51, v49 dst_sel:DWORD dst_unused:UNUSED_PAD src0_sel:WORD_1 src1_sel:WORD_1
	v_sub_f16_sdwa v49, v49, v51 dst_sel:DWORD dst_unused:UNUSED_PAD src0_sel:WORD_1 src1_sel:WORD_1
	v_pk_add_f16 v129, v48, v51
	v_pk_add_f16 v48, v126, v115
	v_add_f16_e32 v51, v115, v111
	v_sub_f16_sdwa v126, v115, v111 dst_sel:DWORD dst_unused:UNUSED_PAD src0_sel:WORD_1 src1_sel:WORD_1
	v_sub_f16_e32 v130, v113, v115
	v_sub_f16_e32 v131, v115, v113
	v_add_f16_sdwa v132, v115, v111 dst_sel:DWORD dst_unused:UNUSED_PAD src0_sel:WORD_1 src1_sel:WORD_1
	v_sub_f16_e32 v133, v115, v111
	v_sub_f16_sdwa v134, v113, v115 dst_sel:DWORD dst_unused:UNUSED_PAD src0_sel:WORD_1 src1_sel:WORD_1
	v_sub_f16_sdwa v115, v115, v113 dst_sel:DWORD dst_unused:UNUSED_PAD src0_sel:WORD_1 src1_sel:WORD_1
	v_sub_f16_sdwa v135, v113, v53 dst_sel:DWORD dst_unused:UNUSED_PAD src0_sel:WORD_1 src1_sel:WORD_1
	v_add_f16_e32 v136, v113, v53
	v_sub_f16_e32 v137, v113, v53
	v_add_f16_sdwa v113, v113, v53 dst_sel:DWORD dst_unused:UNUSED_PAD src0_sel:WORD_1 src1_sel:WORD_1
	v_add_f16_e32 v106, v106, v127
	v_fmac_f16_e32 v140, 0xb8b4, v114
	v_fmac_f16_e32 v116, 0x38b4, v114
	v_lshrrev_b32_e32 v127, 16, v55
	v_fma_f16 v55, -0.5, v50, v55
	v_lshrrev_b32_e32 v50, 16, v117
	v_fmac_f16_e32 v140, 0x34f2, v106
	v_fmac_f16_e32 v116, 0x34f2, v106
	v_fma_f16 v106, -0.5, v108, v127
	v_fmac_f16_e32 v127, -0.5, v107
	v_fma_f16 v107, -0.5, v132, v50
	v_fmac_f16_e32 v50, -0.5, v113
	v_pk_add_f16 v48, v48, v111
	v_sub_f16_e32 v138, v53, v111
	v_sub_f16_e32 v139, v111, v53
	v_sub_f16_sdwa v141, v53, v111 dst_sel:DWORD dst_unused:UNUSED_PAD src0_sel:WORD_1 src1_sel:WORD_1
	v_sub_f16_sdwa v111, v111, v53 dst_sel:DWORD dst_unused:UNUSED_PAD src0_sel:WORD_1 src1_sel:WORD_1
	v_fmamk_f16 v113, v133, 0xbb9c, v50
	v_fmac_f16_e32 v50, 0x3b9c, v133
	v_add_f16_e32 v49, v109, v49
	v_fma_f16 v108, -0.5, v51, v117
	v_fma_f16 v51, -0.5, v136, v117
	v_fmamk_f16 v109, v110, 0xbb9c, v127
	v_fmac_f16_e32 v127, 0x3b9c, v110
	v_add_f16_e32 v111, v115, v111
	v_fmac_f16_e32 v50, 0xb8b4, v137
	v_fmamk_f16 v117, v126, 0x3b9c, v51
	v_fmac_f16_e32 v51, 0xbb9c, v126
	v_fmac_f16_e32 v109, 0x38b4, v124
	;; [unrolled: 1-line block ×5, first 2 shown]
	v_add_f16_e32 v115, v131, v139
	v_fmac_f16_e32 v51, 0x38b4, v135
	v_fmac_f16_e32 v109, 0x34f2, v49
	;; [unrolled: 1-line block ×3, first 2 shown]
	v_mul_f16_e32 v131, 0xbb9c, v50
	v_mul_f16_e32 v132, 0xb4f2, v50
	v_fmac_f16_e32 v113, 0x34f2, v111
	v_fmac_f16_e32 v127, 0x34f2, v49
	v_fmamk_f16 v49, v137, 0x3b9c, v107
	v_fmamk_f16 v50, v135, 0xbb9c, v108
	v_fmac_f16_e32 v107, 0xbb9c, v137
	v_fmac_f16_e32 v51, 0x34f2, v115
	;; [unrolled: 1-line block ×3, first 2 shown]
	v_mul_f16_e32 v111, 0xbb9c, v113
	v_mul_f16_e32 v113, 0x34f2, v113
	v_add_f16_e32 v115, v130, v138
	v_add_f16_e32 v130, v134, v141
	v_fmac_f16_e32 v49, 0x38b4, v133
	v_fmac_f16_e32 v50, 0xb8b4, v126
	;; [unrolled: 1-line block ×6, first 2 shown]
	v_add_f16_e32 v54, v54, v125
	v_fmac_f16_e32 v49, 0x34f2, v130
	v_fmac_f16_e32 v50, 0x34f2, v115
	v_fmamk_f16 v117, v114, 0xbb9c, v55
	v_fmamk_f16 v125, v124, 0x3b9c, v106
	v_fmac_f16_e32 v55, 0x3b9c, v114
	v_fmac_f16_e32 v106, 0xbb9c, v124
	v_fmac_f16_e32 v108, 0x38b4, v126
	v_fmac_f16_e32 v107, 0x34f2, v130
	v_add_f16_e32 v112, v112, v128
	v_mul_f16_e32 v128, 0xb8b4, v49
	v_mul_f16_e32 v134, 0x38b4, v50
	v_fmac_f16_e32 v117, 0xb8b4, v52
	v_fmac_f16_e32 v125, 0x38b4, v110
	;; [unrolled: 1-line block ×5, first 2 shown]
	v_mul_f16_e32 v52, 0xb8b4, v107
	v_mul_f16_e32 v107, 0xba79, v107
	v_fmac_f16_e32 v131, 0xb4f2, v51
	v_fmac_f16_e32 v132, 0x3b9c, v51
	;; [unrolled: 1-line block ×6, first 2 shown]
	v_add_f16_e32 v136, v109, v113
	v_pk_add_f16 v141, v48, v53
	v_sub_f16_e32 v53, v140, v111
	v_sub_f16_e32 v109, v109, v113
	v_fmac_f16_e32 v55, 0x34f2, v54
	v_fmac_f16_e32 v106, 0x34f2, v112
	;; [unrolled: 1-line block ×4, first 2 shown]
	v_add_f16_e32 v51, v116, v131
	v_add_f16_e32 v49, v127, v132
	;; [unrolled: 1-line block ×5, first 2 shown]
	v_sub_f16_e32 v54, v117, v128
	v_sub_f16_e32 v108, v125, v134
	v_pack_b32_f16 v53, v53, v109
	v_add_f16_e32 v109, v55, v52
	v_add_f16_e32 v110, v106, v107
	v_sub_f16_e32 v111, v116, v131
	v_sub_f16_e32 v112, v55, v52
	;; [unrolled: 1-line block ×4, first 2 shown]
	v_pack_b32_f16 v49, v51, v49
	v_pack_b32_f16 v48, v50, v136
	;; [unrolled: 1-line block ×3, first 2 shown]
	v_pk_add_f16 v50, v129, v141
	v_pack_b32_f16 v52, v54, v108
	v_pk_add_f16 v55, v129, v141 neg_lo:[0,1] neg_hi:[0,1]
	v_pack_b32_f16 v54, v109, v110
	v_pack_b32_f16 v107, v112, v106
	;; [unrolled: 1-line block ×3, first 2 shown]
	ds_write2_b64 v88, v[120:121], v[118:119] offset0:2 offset1:3
	ds_write_b64 v88, v[122:123] offset:32
	ds_write2_b64 v92, v[50:51], v[48:49] offset1:1
	ds_write2_b64 v92, v[54:55], v[52:53] offset0:2 offset1:3
	ds_write_b64 v92, v[106:107] offset:32
	s_waitcnt lgkmcnt(0)
	s_barrier
	buffer_gl0_inv
	ds_read2_b32 v[48:49], v86 offset0:16 offset1:216
	ds_read2_b32 v[108:109], v85 offset0:32 offset1:232
	;; [unrolled: 1-line block ×3, first 2 shown]
	ds_read2_b32 v[112:113], v78 offset1:200
	ds_read2_b32 v[115:116], v80 offset0:16 offset1:216
	ds_read2_b32 v[120:121], v73 offset0:48 offset1:248
	;; [unrolled: 1-line block ×3, first 2 shown]
	ds_read2_b32 v[122:123], v70 offset1:200
	s_waitcnt lgkmcnt(7)
	v_lshrrev_b32_e32 v50, 16, v48
	v_mul_f16_sdwa v51, v28, v48 dst_sel:DWORD dst_unused:UNUSED_PAD src0_sel:WORD_1 src1_sel:DWORD
	s_waitcnt lgkmcnt(6)
	v_lshrrev_b32_e32 v53, 16, v108
	v_mul_f16_sdwa v54, v29, v108 dst_sel:DWORD dst_unused:UNUSED_PAD src0_sel:WORD_1 src1_sel:DWORD
	s_waitcnt lgkmcnt(5)
	v_mul_f16_sdwa v55, v30, v110 dst_sel:DWORD dst_unused:UNUSED_PAD src0_sel:WORD_1 src1_sel:DWORD
	s_waitcnt lgkmcnt(4)
	v_lshrrev_b32_e32 v107, 16, v112
	v_fma_f16 v52, v28, v50, -v51
	v_mul_f16_sdwa v51, v28, v50 dst_sel:DWORD dst_unused:UNUSED_PAD src0_sel:WORD_1 src1_sel:DWORD
	v_lshrrev_b32_e32 v50, 16, v110
	v_fma_f16 v88, v29, v53, -v54
	v_mul_f16_sdwa v106, v31, v112 dst_sel:DWORD dst_unused:UNUSED_PAD src0_sel:WORD_1 src1_sel:DWORD
	v_mul_f16_sdwa v92, v29, v53 dst_sel:DWORD dst_unused:UNUSED_PAD src0_sel:WORD_1 src1_sel:DWORD
	v_lshrrev_b32_e32 v53, 16, v49
	v_fma_f16 v54, v30, v50, -v55
	v_mul_f16_sdwa v55, v30, v50 dst_sel:DWORD dst_unused:UNUSED_PAD src0_sel:WORD_1 src1_sel:DWORD
	v_fma_f16 v106, v31, v107, -v106
	v_mul_f16_sdwa v107, v31, v107 dst_sel:DWORD dst_unused:UNUSED_PAD src0_sel:WORD_1 src1_sel:DWORD
	v_lshrrev_b32_e32 v50, 16, v111
	v_fmac_f16_e32 v51, v28, v48
	v_fmac_f16_e32 v55, v30, v110
	v_lshrrev_b32_e32 v30, 16, v109
	v_fmac_f16_e32 v107, v31, v112
	v_mul_f16_sdwa v28, v24, v53 dst_sel:DWORD dst_unused:UNUSED_PAD src0_sel:WORD_1 src1_sel:DWORD
	v_fmac_f16_e32 v92, v29, v108
	v_lshrrev_b32_e32 v108, 16, v113
	v_mul_f16_sdwa v31, v25, v30 dst_sel:DWORD dst_unused:UNUSED_PAD src0_sel:WORD_1 src1_sel:DWORD
	v_mul_f16_sdwa v29, v24, v49 dst_sel:DWORD dst_unused:UNUSED_PAD src0_sel:WORD_1 src1_sel:DWORD
	;; [unrolled: 1-line block ×3, first 2 shown]
	v_fmac_f16_e32 v28, v24, v49
	v_mul_f16_sdwa v49, v27, v108 dst_sel:DWORD dst_unused:UNUSED_PAD src0_sel:WORD_1 src1_sel:DWORD
	v_fmac_f16_e32 v31, v25, v109
	v_mul_f16_sdwa v109, v25, v109 dst_sel:DWORD dst_unused:UNUSED_PAD src0_sel:WORD_1 src1_sel:DWORD
	;; [unrolled: 2-line block ×3, first 2 shown]
	v_mul_f16_sdwa v111, v27, v113 dst_sel:DWORD dst_unused:UNUSED_PAD src0_sel:WORD_1 src1_sel:DWORD
	v_fma_f16 v29, v24, v53, -v29
	v_fma_f16 v30, v25, v30, -v109
	s_waitcnt lgkmcnt(3)
	v_lshrrev_b32_e32 v24, 16, v115
	v_mul_f16_sdwa v25, v20, v115 dst_sel:DWORD dst_unused:UNUSED_PAD src0_sel:WORD_1 src1_sel:DWORD
	v_fmac_f16_e32 v49, v27, v113
	v_fma_f16 v50, v26, v50, -v110
	v_fma_f16 v26, v27, v108, -v111
	v_mul_f16_sdwa v110, v20, v24 dst_sel:DWORD dst_unused:UNUSED_PAD src0_sel:WORD_1 src1_sel:DWORD
	v_fma_f16 v108, v20, v24, -v25
	s_waitcnt lgkmcnt(2)
	v_lshrrev_b32_e32 v113, 16, v120
	v_mul_f16_sdwa v24, v22, v120 dst_sel:DWORD dst_unused:UNUSED_PAD src0_sel:WORD_1 src1_sel:DWORD
	s_waitcnt lgkmcnt(1)
	v_lshrrev_b32_e32 v27, 16, v118
	v_mul_f16_sdwa v53, v21, v118 dst_sel:DWORD dst_unused:UNUSED_PAD src0_sel:WORD_1 src1_sel:DWORD
	s_waitcnt lgkmcnt(0)
	v_mul_f16_sdwa v114, v23, v122 dst_sel:DWORD dst_unused:UNUSED_PAD src0_sel:WORD_1 src1_sel:DWORD
	v_fmac_f16_e32 v110, v20, v115
	v_fma_f16 v109, v22, v113, -v24
	ds_read2_b32 v[24:25], v69 offset0:16 offset1:216
	v_fma_f16 v111, v21, v27, -v53
	v_lshrrev_b32_e32 v53, 16, v122
	v_mul_f16_sdwa v112, v21, v27 dst_sel:DWORD dst_unused:UNUSED_PAD src0_sel:WORD_1 src1_sel:DWORD
	v_lshrrev_b32_e32 v27, 16, v116
	v_lshrrev_b32_e32 v20, 16, v119
	v_mul_f16_sdwa v115, v4, v116 dst_sel:DWORD dst_unused:UNUSED_PAD src0_sel:WORD_1 src1_sel:DWORD
	v_mul_f16_sdwa v117, v23, v53 dst_sel:DWORD dst_unused:UNUSED_PAD src0_sel:WORD_1 src1_sel:DWORD
	v_fmac_f16_e32 v112, v21, v118
	v_mul_f16_sdwa v21, v4, v27 dst_sel:DWORD dst_unused:UNUSED_PAD src0_sel:WORD_1 src1_sel:DWORD
	v_mul_f16_sdwa v113, v22, v113 dst_sel:DWORD dst_unused:UNUSED_PAD src0_sel:WORD_1 src1_sel:DWORD
	v_fma_f16 v114, v23, v53, -v114
	v_fmac_f16_e32 v117, v23, v122
	v_mul_f16_sdwa v23, v5, v20 dst_sel:DWORD dst_unused:UNUSED_PAD src0_sel:WORD_1 src1_sel:DWORD
	v_fmac_f16_e32 v21, v4, v116
	v_mul_f16_sdwa v122, v5, v119 dst_sel:DWORD dst_unused:UNUSED_PAD src0_sel:WORD_1 src1_sel:DWORD
	v_fma_f16 v27, v4, v27, -v115
	v_add_f16_e32 v4, v108, v109
	v_fmac_f16_e32 v113, v22, v120
	v_lshrrev_b32_e32 v120, 16, v121
	s_waitcnt lgkmcnt(0)
	v_lshrrev_b32_e32 v124, 16, v24
	v_mul_f16_sdwa v125, v99, v24 dst_sel:DWORD dst_unused:UNUSED_PAD src0_sel:WORD_1 src1_sel:DWORD
	v_fmac_f16_e32 v23, v5, v119
	v_fma_f16 v20, v5, v20, -v122
	v_mul_f16_sdwa v22, v6, v120 dst_sel:DWORD dst_unused:UNUSED_PAD src0_sel:WORD_1 src1_sel:DWORD
	v_mul_f16_sdwa v116, v99, v124 dst_sel:DWORD dst_unused:UNUSED_PAD src0_sel:WORD_1 src1_sel:DWORD
	v_fma_f16 v115, v99, v124, -v125
	v_fma_f16 v124, -0.5, v4, v52
	ds_read2_b32 v[4:5], v83 offset1:200
	v_lshrrev_b32_e32 v118, 16, v123
	v_fmac_f16_e32 v22, v6, v121
	v_mul_f16_sdwa v121, v6, v121 dst_sel:DWORD dst_unused:UNUSED_PAD src0_sel:WORD_1 src1_sel:DWORD
	v_fmac_f16_e32 v116, v99, v24
	v_mul_f16_sdwa v119, v7, v123 dst_sel:DWORD dst_unused:UNUSED_PAD src0_sel:WORD_1 src1_sel:DWORD
	v_mul_f16_sdwa v53, v7, v118 dst_sel:DWORD dst_unused:UNUSED_PAD src0_sel:WORD_1 src1_sel:DWORD
	v_sub_f16_e32 v24, v92, v107
	v_fma_f16 v6, v6, v120, -v121
	v_sub_f16_e32 v120, v88, v106
	v_sub_f16_e32 v121, v114, v111
	v_fmac_f16_e32 v53, v7, v123
	v_add_f16_e32 v123, v110, v113
	v_sub_f16_e32 v125, v55, v116
	v_sub_f16_e32 v132, v117, v112
	v_add_f16_e32 v120, v120, v121
	v_sub_f16_e32 v122, v54, v108
	v_sub_f16_e32 v126, v115, v109
	v_fma_f16 v123, -0.5, v123, v51
	v_sub_f16_e32 v127, v54, v115
	s_waitcnt lgkmcnt(0)
	v_add_f16_e32 v121, v4, v92
	v_fmamk_f16 v128, v125, 0x3b9c, v124
	v_sub_f16_e32 v129, v110, v113
	v_add_f16_e32 v24, v24, v132
	v_lshrrev_b32_e32 v132, 16, v4
	v_add_f16_e32 v121, v121, v107
	v_add_f16_e32 v135, v107, v112
	;; [unrolled: 1-line block ×3, first 2 shown]
	v_sub_f16_e32 v99, v55, v110
	v_sub_f16_e32 v130, v116, v113
	v_add_f16_e32 v122, v122, v126
	v_fmamk_f16 v126, v127, 0xbb9c, v123
	v_sub_f16_e32 v131, v108, v109
	v_fmac_f16_e32 v128, 0x38b4, v129
	v_add_f16_e32 v133, v132, v88
	v_add_f16_e32 v121, v121, v112
	v_fma_f16 v135, -0.5, v135, v4
	v_sub_f16_e32 v138, v92, v117
	v_sub_f16_e32 v140, v106, v111
	;; [unrolled: 1-line block ×3, first 2 shown]
	v_fma_f16 v4, -0.5, v144, v4
	v_sub_f16_e32 v92, v107, v92
	v_sub_f16_e32 v107, v112, v117
	v_add_f16_e32 v99, v99, v130
	v_fmac_f16_e32 v126, 0xb8b4, v131
	v_fmac_f16_e32 v128, 0x34f2, v122
	v_add_f16_e32 v133, v133, v106
	v_add_f16_e32 v136, v106, v111
	v_sub_f16_e32 v137, v88, v114
	v_add_f16_e32 v121, v121, v117
	v_fmamk_f16 v117, v140, 0x3b9c, v4
	v_fmac_f16_e32 v4, 0xbb9c, v140
	v_add_f16_e32 v92, v92, v107
	v_sub_f16_e32 v106, v106, v88
	v_add_f16_e32 v88, v88, v114
	v_sub_f16_e32 v107, v111, v114
	v_fmac_f16_e32 v126, 0x34f2, v99
	v_mul_f16_e32 v130, 0xb8b4, v128
	v_mul_f16_e32 v128, 0x3a79, v128
	v_fma_f16 v136, -0.5, v136, v132
	v_fmac_f16_e32 v117, 0xb8b4, v137
	v_fmac_f16_e32 v4, 0x38b4, v137
	v_fmac_f16_e32 v132, -0.5, v88
	v_add_f16_e32 v88, v106, v107
	v_add_f16_e32 v106, v54, v115
	v_fmac_f16_e32 v130, 0x3a79, v126
	v_fmac_f16_e32 v128, 0x38b4, v126
	v_add_f16_e32 v126, v51, v55
	v_add_f16_e32 v134, v52, v54
	v_fmac_f16_e32 v117, 0x34f2, v92
	v_fmac_f16_e32 v4, 0x34f2, v92
	v_sub_f16_e32 v92, v110, v55
	v_add_f16_e32 v55, v55, v116
	v_fmac_f16_e32 v52, -0.5, v106
	v_sub_f16_e32 v54, v108, v54
	v_fmac_f16_e32 v124, 0xbb9c, v125
	v_add_f16_e32 v126, v126, v110
	v_fmac_f16_e32 v51, -0.5, v55
	v_sub_f16_e32 v55, v109, v115
	v_fmamk_f16 v106, v129, 0xbb9c, v52
	v_fmac_f16_e32 v52, 0x3b9c, v129
	v_add_f16_e32 v134, v134, v108
	v_sub_f16_e32 v107, v113, v116
	v_fmamk_f16 v110, v142, 0xbb9c, v132
	v_fmac_f16_e32 v132, 0x3b9c, v142
	v_fmamk_f16 v108, v131, 0x3b9c, v51
	v_add_f16_e32 v54, v54, v55
	v_fmac_f16_e32 v106, 0x38b4, v125
	v_fmac_f16_e32 v51, 0xbb9c, v131
	v_fmac_f16_e32 v52, 0xb8b4, v125
	v_fmac_f16_e32 v123, 0x3b9c, v127
	v_fmac_f16_e32 v124, 0xb8b4, v129
	v_fmamk_f16 v139, v137, 0xbb9c, v135
	v_fmamk_f16 v141, v138, 0x3b9c, v136
	v_fmac_f16_e32 v110, 0x38b4, v138
	v_fmac_f16_e32 v132, 0xb8b4, v138
	v_add_f16_e32 v55, v92, v107
	v_fmac_f16_e32 v108, 0xb8b4, v127
	v_fmac_f16_e32 v106, 0x34f2, v54
	;; [unrolled: 1-line block ×8, first 2 shown]
	v_add_f16_e32 v133, v133, v111
	v_add_f16_e32 v126, v126, v113
	;; [unrolled: 1-line block ×3, first 2 shown]
	v_fmac_f16_e32 v139, 0xb8b4, v140
	v_fmac_f16_e32 v141, 0x38b4, v142
	;; [unrolled: 1-line block ×4, first 2 shown]
	v_mul_f16_e32 v54, 0xbb9c, v106
	v_fmac_f16_e32 v132, 0x34f2, v88
	v_fmac_f16_e32 v51, 0x34f2, v55
	v_mul_f16_e32 v55, 0x34f2, v106
	v_mul_f16_e32 v88, 0xbb9c, v52
	;; [unrolled: 1-line block ×3, first 2 shown]
	v_fmac_f16_e32 v135, 0x38b4, v140
	v_fmac_f16_e32 v136, 0xb8b4, v142
	;; [unrolled: 1-line block ×3, first 2 shown]
	v_mul_f16_e32 v92, 0xb8b4, v124
	v_mul_f16_e32 v99, 0xba79, v124
	v_add_f16_e32 v126, v126, v116
	v_add_f16_e32 v133, v133, v114
	;; [unrolled: 1-line block ×3, first 2 shown]
	v_fmac_f16_e32 v139, 0x34f2, v24
	v_fmac_f16_e32 v141, 0x34f2, v120
	v_fmac_f16_e32 v54, 0x34f2, v108
	v_fmac_f16_e32 v55, 0x3b9c, v108
	v_fmac_f16_e32 v88, 0xb4f2, v51
	v_fmac_f16_e32 v52, 0x3b9c, v51
	v_fmac_f16_e32 v135, 0x34f2, v24
	v_fmac_f16_e32 v136, 0x34f2, v120
	v_fmac_f16_e32 v92, 0xba79, v123
	v_fmac_f16_e32 v99, 0x38b4, v123
	v_add_f16_e32 v143, v121, v126
	v_add_f16_e32 v145, v133, v134
	v_fma_f16 v7, v7, v118, -v119
	v_add_f16_e32 v118, v139, v130
	v_add_f16_e32 v119, v141, v128
	;; [unrolled: 1-line block ×6, first 2 shown]
	v_sub_f16_e32 v108, v121, v126
	v_add_f16_e32 v109, v135, v92
	v_add_f16_e32 v111, v136, v99
	v_sub_f16_e32 v113, v133, v134
	v_pack_b32_f16 v143, v143, v145
	v_pack_b32_f16 v112, v118, v119
	;; [unrolled: 1-line block ×6, first 2 shown]
	s_barrier
	buffer_gl0_inv
	ds_write2_b32 v89, v143, v112 offset1:10
	ds_write2_b32 v89, v51, v24 offset0:20 offset1:30
	v_sub_f16_e32 v24, v139, v130
	v_sub_f16_e32 v51, v141, v128
	ds_write2_b32 v89, v106, v107 offset0:40 offset1:50
	v_lshrrev_b32_e32 v106, 16, v25
	v_sub_f16_e32 v54, v117, v54
	v_sub_f16_e32 v55, v110, v55
	v_pack_b32_f16 v24, v24, v51
	v_sub_f16_e32 v4, v4, v88
	v_mul_f16_sdwa v51, v90, v106 dst_sel:DWORD dst_unused:UNUSED_PAD src0_sel:WORD_1 src1_sel:DWORD
	v_mul_f16_sdwa v88, v90, v25 dst_sel:DWORD dst_unused:UNUSED_PAD src0_sel:WORD_1 src1_sel:DWORD
	v_sub_f16_e32 v92, v135, v92
	v_sub_f16_e32 v52, v132, v52
	v_add_f16_e32 v108, v5, v31
	v_sub_f16_e32 v99, v136, v99
	v_add_f16_e32 v107, v49, v23
	v_fmac_f16_e32 v51, v90, v25
	v_fma_f16 v25, v90, v106, -v88
	v_add_f16_e32 v112, v28, v48
	v_pack_b32_f16 v54, v54, v55
	v_pack_b32_f16 v4, v4, v52
	v_pack_b32_f16 v52, v92, v99
	v_add_f16_e32 v92, v108, v49
	v_add_f16_e32 v88, v31, v53
	v_fma_f16 v90, -0.5, v107, v5
	v_add_f16_e32 v107, v21, v22
	v_add_f16_e32 v110, v48, v51
	;; [unrolled: 1-line block ×3, first 2 shown]
	v_sub_f16_e32 v113, v21, v48
	v_sub_f16_e32 v114, v22, v51
	v_add_f16_e32 v115, v50, v25
	v_sub_f16_e32 v117, v27, v50
	v_sub_f16_e32 v118, v6, v25
	ds_write2_b32 v89, v24, v54 offset0:60 offset1:70
	ds_write2_b32 v89, v4, v52 offset0:80 offset1:90
	v_add_f16_e32 v24, v92, v23
	v_add_f16_e32 v89, v112, v21
	v_lshrrev_b32_e32 v106, 16, v5
	v_fmac_f16_e32 v5, -0.5, v88
	v_sub_f16_e32 v88, v49, v31
	v_sub_f16_e32 v109, v23, v53
	v_fma_f16 v107, -0.5, v107, v28
	v_fma_f16 v111, -0.5, v111, v29
	v_add_f16_e32 v116, v29, v50
	v_fmac_f16_e32 v29, -0.5, v115
	v_sub_f16_e32 v115, v21, v22
	v_fmac_f16_e32 v28, -0.5, v110
	v_add_f16_e32 v110, v113, v114
	v_add_f16_e32 v113, v117, v118
	v_sub_f16_e32 v118, v48, v51
	v_sub_f16_e32 v121, v50, v25
	;; [unrolled: 1-line block ×4, first 2 shown]
	v_add_f16_e32 v24, v24, v53
	v_sub_f16_e32 v31, v31, v53
	v_add_f16_e32 v53, v89, v22
	v_sub_f16_e32 v21, v48, v21
	v_sub_f16_e32 v22, v51, v22
	;; [unrolled: 1-line block ×5, first 2 shown]
	v_add_f16_e32 v92, v30, v7
	v_add_f16_e32 v21, v21, v22
	;; [unrolled: 1-line block ×5, first 2 shown]
	v_fmamk_f16 v117, v115, 0xbb9c, v29
	v_fmac_f16_e32 v29, 0x3b9c, v115
	v_add_f16_e32 v6, v22, v6
	v_add_f16_e32 v22, v26, v20
	;; [unrolled: 1-line block ×3, first 2 shown]
	v_sub_f16_e32 v23, v49, v23
	v_add_f16_e32 v51, v53, v51
	v_fmamk_f16 v53, v118, 0x3b9c, v111
	v_fma_f16 v22, -0.5, v22, v106
	v_add_f16_e32 v50, v50, v20
	v_fmac_f16_e32 v106, -0.5, v92
	v_fmac_f16_e32 v111, 0xbb9c, v118
	v_sub_f16_e32 v119, v26, v20
	v_fmamk_f16 v120, v114, 0x3b9c, v28
	v_fmac_f16_e32 v28, 0xbb9c, v114
	v_fmac_f16_e32 v29, 0xb8b4, v118
	v_sub_f16_e32 v123, v30, v7
	v_add_f16_e32 v52, v55, v99
	v_sub_f16_e32 v54, v30, v26
	v_sub_f16_e32 v55, v7, v20
	v_add_f16_e32 v50, v50, v7
	v_sub_f16_e32 v26, v26, v30
	v_sub_f16_e32 v7, v20, v7
	v_fmamk_f16 v20, v23, 0xbb9c, v106
	v_fmac_f16_e32 v106, 0x3b9c, v23
	v_fmamk_f16 v48, v121, 0xbb9c, v107
	v_fmac_f16_e32 v53, 0x38b4, v115
	v_fmac_f16_e32 v117, 0x38b4, v118
	;; [unrolled: 1-line block ×4, first 2 shown]
	v_fmamk_f16 v122, v119, 0x3b9c, v5
	v_fmac_f16_e32 v5, 0xbb9c, v119
	v_fmac_f16_e32 v28, 0x38b4, v121
	;; [unrolled: 1-line block ×3, first 2 shown]
	v_add_f16_e32 v7, v26, v7
	v_fmac_f16_e32 v20, 0x38b4, v31
	v_fmac_f16_e32 v106, 0xb8b4, v31
	v_add_f16_e32 v49, v54, v55
	v_fmac_f16_e32 v48, 0xb8b4, v114
	v_fmac_f16_e32 v53, 0x34f2, v27
	v_fmamk_f16 v54, v123, 0xbb9c, v90
	v_fmamk_f16 v55, v31, 0x3b9c, v22
	v_fmac_f16_e32 v120, 0xb8b4, v121
	v_fmac_f16_e32 v117, 0x34f2, v113
	;; [unrolled: 1-line block ×6, first 2 shown]
	v_add_f16_e32 v88, v88, v109
	v_fmac_f16_e32 v5, 0x38b4, v123
	v_fmac_f16_e32 v28, 0x34f2, v110
	v_mul_f16_e32 v109, 0xbb9c, v29
	v_fmac_f16_e32 v20, 0x34f2, v7
	v_fmac_f16_e32 v106, 0x34f2, v7
	v_mul_f16_e32 v7, 0xb4f2, v29
	v_add_f16_e32 v6, v6, v25
	v_fmac_f16_e32 v48, 0x34f2, v21
	v_mul_f16_e32 v25, 0xb8b4, v53
	v_mul_f16_e32 v53, 0x3a79, v53
	v_fmac_f16_e32 v54, 0xb8b4, v119
	v_fmac_f16_e32 v55, 0x38b4, v23
	;; [unrolled: 1-line block ×4, first 2 shown]
	v_mul_f16_e32 v26, 0xbb9c, v117
	v_mul_f16_e32 v30, 0x34f2, v117
	v_fmac_f16_e32 v90, 0x38b4, v119
	v_fmac_f16_e32 v22, 0xb8b4, v23
	v_fmac_f16_e32 v107, 0x34f2, v21
	v_mul_f16_e32 v21, 0xb8b4, v111
	v_mul_f16_e32 v23, 0xba79, v111
	v_fmac_f16_e32 v5, 0x34f2, v88
	v_fmac_f16_e32 v109, 0xb4f2, v28
	;; [unrolled: 1-line block ×5, first 2 shown]
	v_add_f16_e32 v48, v24, v51
	v_add_f16_e32 v89, v50, v6
	v_fmac_f16_e32 v54, 0x34f2, v52
	v_fmac_f16_e32 v55, 0x34f2, v49
	;; [unrolled: 1-line block ×9, first 2 shown]
	v_add_f16_e32 v4, v5, v109
	v_add_f16_e32 v29, v106, v7
	v_pack_b32_f16 v48, v48, v89
	v_add_f16_e32 v89, v54, v25
	v_add_f16_e32 v99, v55, v53
	;; [unrolled: 1-line block ×6, first 2 shown]
	v_sub_f16_e32 v24, v24, v51
	v_sub_f16_e32 v6, v50, v6
	v_pack_b32_f16 v4, v4, v29
	v_sub_f16_e32 v25, v54, v25
	v_sub_f16_e32 v26, v122, v26
	;; [unrolled: 1-line block ×8, first 2 shown]
	v_pack_b32_f16 v31, v89, v99
	v_pack_b32_f16 v27, v27, v28
	;; [unrolled: 1-line block ×8, first 2 shown]
	ds_write2_b32 v91, v48, v31 offset1:10
	ds_write2_b32 v91, v27, v4 offset0:20 offset1:30
	ds_write2_b32 v91, v28, v6 offset0:40 offset1:50
	;; [unrolled: 1-line block ×4, first 2 shown]
	s_waitcnt lgkmcnt(0)
	s_barrier
	buffer_gl0_inv
	ds_read2_b32 v[4:5], v86 offset0:16 offset1:216
	ds_read2_b32 v[28:29], v85 offset0:32 offset1:232
	;; [unrolled: 1-line block ×3, first 2 shown]
	ds_read2_b32 v[48:49], v78 offset1:200
	ds_read2_b32 v[51:52], v80 offset0:16 offset1:216
	ds_read2_b32 v[88:89], v73 offset0:48 offset1:248
	;; [unrolled: 1-line block ×3, first 2 shown]
	ds_read2_b32 v[90:91], v70 offset1:200
	s_waitcnt lgkmcnt(7)
	v_lshrrev_b32_e32 v6, 16, v4
	v_mul_f16_sdwa v7, v16, v4 dst_sel:DWORD dst_unused:UNUSED_PAD src0_sel:WORD_1 src1_sel:DWORD
	s_waitcnt lgkmcnt(6)
	v_lshrrev_b32_e32 v22, 16, v28
	v_mul_f16_sdwa v23, v17, v28 dst_sel:DWORD dst_unused:UNUSED_PAD src0_sel:WORD_1 src1_sel:DWORD
	;; [unrolled: 3-line block ×3, first 2 shown]
	v_fma_f16 v21, v16, v6, -v7
	v_lshrrev_b32_e32 v6, 16, v30
	v_mul_f16_sdwa v7, v18, v30 dst_sel:DWORD dst_unused:UNUSED_PAD src0_sel:WORD_1 src1_sel:DWORD
	v_mul_f16_sdwa v26, v19, v48 dst_sel:DWORD dst_unused:UNUSED_PAD src0_sel:WORD_1 src1_sel:DWORD
	v_fma_f16 v24, v17, v22, -v23
	v_mul_f16_sdwa v25, v17, v22 dst_sel:DWORD dst_unused:UNUSED_PAD src0_sel:WORD_1 src1_sel:DWORD
	v_fmac_f16_e32 v20, v16, v4
	v_fma_f16 v22, v18, v6, -v7
	v_lshrrev_b32_e32 v7, 16, v5
	v_fma_f16 v26, v19, v27, -v26
	v_mul_f16_sdwa v27, v19, v27 dst_sel:DWORD dst_unused:UNUSED_PAD src0_sel:WORD_1 src1_sel:DWORD
	v_lshrrev_b32_e32 v4, 16, v29
	v_mul_f16_sdwa v23, v18, v6 dst_sel:DWORD dst_unused:UNUSED_PAD src0_sel:WORD_1 src1_sel:DWORD
	v_mul_f16_sdwa v6, v12, v7 dst_sel:DWORD dst_unused:UNUSED_PAD src0_sel:WORD_1 src1_sel:DWORD
	v_fmac_f16_e32 v25, v17, v28
	v_fmac_f16_e32 v27, v19, v48
	v_lshrrev_b32_e32 v19, 16, v31
	v_mul_f16_sdwa v17, v13, v4 dst_sel:DWORD dst_unused:UNUSED_PAD src0_sel:WORD_1 src1_sel:DWORD
	v_fmac_f16_e32 v6, v12, v5
	v_lshrrev_b32_e32 v28, 16, v49
	v_mul_f16_sdwa v5, v12, v5 dst_sel:DWORD dst_unused:UNUSED_PAD src0_sel:WORD_1 src1_sel:DWORD
	v_mul_f16_sdwa v16, v14, v19 dst_sel:DWORD dst_unused:UNUSED_PAD src0_sel:WORD_1 src1_sel:DWORD
	v_fmac_f16_e32 v17, v13, v29
	v_mul_f16_sdwa v29, v13, v29 dst_sel:DWORD dst_unused:UNUSED_PAD src0_sel:WORD_1 src1_sel:DWORD
	v_fmac_f16_e32 v23, v18, v30
	;; [unrolled: 2-line block ×3, first 2 shown]
	v_mul_f16_sdwa v30, v14, v31 dst_sel:DWORD dst_unused:UNUSED_PAD src0_sel:WORD_1 src1_sel:DWORD
	v_mul_f16_sdwa v31, v15, v49 dst_sel:DWORD dst_unused:UNUSED_PAD src0_sel:WORD_1 src1_sel:DWORD
	v_fma_f16 v7, v12, v7, -v5
	v_fma_f16 v13, v13, v4, -v29
	s_waitcnt lgkmcnt(3)
	v_lshrrev_b32_e32 v4, 16, v51
	v_mul_f16_sdwa v5, v8, v51 dst_sel:DWORD dst_unused:UNUSED_PAD src0_sel:WORD_1 src1_sel:DWORD
	v_fmac_f16_e32 v18, v15, v49
	v_fma_f16 v12, v14, v19, -v30
	v_fma_f16 v14, v15, v28, -v31
	v_mul_f16_sdwa v30, v8, v4 dst_sel:DWORD dst_unused:UNUSED_PAD src0_sel:WORD_1 src1_sel:DWORD
	v_fma_f16 v28, v8, v4, -v5
	s_waitcnt lgkmcnt(2)
	v_lshrrev_b32_e32 v49, 16, v88
	v_mul_f16_sdwa v4, v10, v88 dst_sel:DWORD dst_unused:UNUSED_PAD src0_sel:WORD_1 src1_sel:DWORD
	s_waitcnt lgkmcnt(1)
	v_lshrrev_b32_e32 v15, 16, v54
	v_mul_f16_sdwa v19, v9, v54 dst_sel:DWORD dst_unused:UNUSED_PAD src0_sel:WORD_1 src1_sel:DWORD
	s_waitcnt lgkmcnt(0)
	v_mul_f16_sdwa v50, v11, v90 dst_sel:DWORD dst_unused:UNUSED_PAD src0_sel:WORD_1 src1_sel:DWORD
	v_fmac_f16_e32 v30, v8, v51
	v_fma_f16 v29, v10, v49, -v4
	ds_read2_b32 v[4:5], v69 offset0:16 offset1:216
	v_fma_f16 v31, v9, v15, -v19
	v_lshrrev_b32_e32 v19, 16, v90
	v_mul_f16_sdwa v48, v9, v15 dst_sel:DWORD dst_unused:UNUSED_PAD src0_sel:WORD_1 src1_sel:DWORD
	v_mul_f16_sdwa v49, v10, v49 dst_sel:DWORD dst_unused:UNUSED_PAD src0_sel:WORD_1 src1_sel:DWORD
	v_lshrrev_b32_e32 v15, 16, v52
	v_lshrrev_b32_e32 v51, 16, v55
	v_mul_f16_sdwa v53, v11, v19 dst_sel:DWORD dst_unused:UNUSED_PAD src0_sel:WORD_1 src1_sel:DWORD
	v_fma_f16 v50, v11, v19, -v50
	v_fmac_f16_e32 v49, v10, v88
	v_mul_f16_sdwa v8, v0, v15 dst_sel:DWORD dst_unused:UNUSED_PAD src0_sel:WORD_1 src1_sel:DWORD
	v_mul_f16_sdwa v10, v0, v52 dst_sel:DWORD dst_unused:UNUSED_PAD src0_sel:WORD_1 src1_sel:DWORD
	v_fmac_f16_e32 v53, v11, v90
	v_mul_f16_sdwa v11, v1, v51 dst_sel:DWORD dst_unused:UNUSED_PAD src0_sel:WORD_1 src1_sel:DWORD
	v_mul_f16_sdwa v90, v1, v55 dst_sel:DWORD dst_unused:UNUSED_PAD src0_sel:WORD_1 src1_sel:DWORD
	v_fmac_f16_e32 v8, v0, v52
	v_fma_f16 v10, v0, v15, -v10
	v_add_f16_e32 v0, v28, v29
	v_lshrrev_b32_e32 v88, 16, v89
	v_fmac_f16_e32 v11, v1, v55
	s_waitcnt lgkmcnt(0)
	v_lshrrev_b32_e32 v92, 16, v4
	v_mul_f16_sdwa v99, v93, v4 dst_sel:DWORD dst_unused:UNUSED_PAD src0_sel:WORD_1 src1_sel:DWORD
	v_fma_f16 v15, v1, v51, -v90
	v_fmac_f16_e32 v48, v9, v54
	v_mul_f16_sdwa v9, v2, v88 dst_sel:DWORD dst_unused:UNUSED_PAD src0_sel:WORD_1 src1_sel:DWORD
	v_mul_f16_sdwa v52, v93, v92 dst_sel:DWORD dst_unused:UNUSED_PAD src0_sel:WORD_1 src1_sel:DWORD
	v_fma_f16 v51, v93, v92, -v99
	v_sub_f16_e32 v90, v23, v30
	v_lshrrev_b32_e32 v54, 16, v91
	v_fmac_f16_e32 v9, v2, v89
	v_fmac_f16_e32 v52, v93, v4
	v_fma_f16 v93, -0.5, v0, v21
	ds_read2_b32 v[0:1], v83 offset1:200
	v_mul_f16_sdwa v89, v2, v89 dst_sel:DWORD dst_unused:UNUSED_PAD src0_sel:WORD_1 src1_sel:DWORD
	v_mul_f16_sdwa v19, v3, v54 dst_sel:DWORD dst_unused:UNUSED_PAD src0_sel:WORD_1 src1_sel:DWORD
	v_sub_f16_e32 v110, v52, v49
	v_sub_f16_e32 v4, v25, v27
	v_add_f16_e32 v92, v30, v49
	v_fma_f16 v2, v2, v88, -v89
	v_sub_f16_e32 v89, v24, v26
	v_add_f16_e32 v88, v90, v110
	v_sub_f16_e32 v90, v50, v31
	v_sub_f16_e32 v99, v23, v52
	;; [unrolled: 1-line block ×3, first 2 shown]
	v_fmac_f16_e32 v19, v3, v91
	v_mul_f16_sdwa v55, v3, v91 dst_sel:DWORD dst_unused:UNUSED_PAD src0_sel:WORD_1 src1_sel:DWORD
	v_add_f16_e32 v89, v89, v90
	v_sub_f16_e32 v91, v22, v28
	v_sub_f16_e32 v106, v51, v29
	v_fma_f16 v92, -0.5, v92, v20
	v_sub_f16_e32 v107, v22, v51
	v_fmamk_f16 v108, v99, 0x3b9c, v93
	s_waitcnt lgkmcnt(0)
	v_add_f16_e32 v90, v0, v25
	v_sub_f16_e32 v109, v30, v49
	v_add_f16_e32 v4, v4, v112
	v_lshrrev_b32_e32 v112, 16, v0
	v_add_f16_e32 v115, v27, v48
	v_add_f16_e32 v90, v90, v27
	;; [unrolled: 1-line block ×4, first 2 shown]
	v_fmamk_f16 v106, v107, 0xbb9c, v92
	v_sub_f16_e32 v111, v28, v29
	v_fmac_f16_e32 v108, 0x38b4, v109
	v_add_f16_e32 v113, v112, v24
	v_add_f16_e32 v90, v90, v48
	v_fma_f16 v115, -0.5, v115, v0
	v_sub_f16_e32 v118, v25, v53
	v_sub_f16_e32 v120, v26, v31
	;; [unrolled: 1-line block ×3, first 2 shown]
	v_fma_f16 v0, -0.5, v124, v0
	v_sub_f16_e32 v25, v27, v25
	v_sub_f16_e32 v27, v48, v53
	v_fmac_f16_e32 v106, 0xb8b4, v111
	v_fmac_f16_e32 v108, 0x34f2, v91
	v_add_f16_e32 v113, v113, v26
	v_add_f16_e32 v116, v26, v31
	v_sub_f16_e32 v117, v24, v50
	v_add_f16_e32 v90, v90, v53
	v_fmamk_f16 v53, v120, 0x3b9c, v0
	v_fmac_f16_e32 v0, 0xbb9c, v120
	v_add_f16_e32 v25, v25, v27
	v_sub_f16_e32 v26, v26, v24
	v_add_f16_e32 v24, v24, v50
	v_sub_f16_e32 v27, v31, v50
	v_fmac_f16_e32 v106, 0x34f2, v88
	v_mul_f16_e32 v110, 0xb8b4, v108
	v_mul_f16_e32 v108, 0x3a79, v108
	v_fma_f16 v116, -0.5, v116, v112
	v_fmac_f16_e32 v53, 0xb8b4, v117
	v_fmac_f16_e32 v0, 0x38b4, v117
	v_fmac_f16_e32 v112, -0.5, v24
	v_add_f16_e32 v24, v26, v27
	v_add_f16_e32 v26, v22, v51
	v_fmac_f16_e32 v110, 0x3a79, v106
	v_fmac_f16_e32 v108, 0x38b4, v106
	v_add_f16_e32 v106, v20, v23
	v_add_f16_e32 v114, v21, v22
	v_fmac_f16_e32 v53, 0x34f2, v25
	v_fmac_f16_e32 v0, 0x34f2, v25
	v_sub_f16_e32 v25, v30, v23
	v_add_f16_e32 v23, v23, v52
	v_fmac_f16_e32 v21, -0.5, v26
	v_sub_f16_e32 v22, v28, v22
	v_fmac_f16_e32 v93, 0xbb9c, v99
	v_add_f16_e32 v106, v106, v30
	v_fmac_f16_e32 v20, -0.5, v23
	v_sub_f16_e32 v23, v29, v51
	v_fmamk_f16 v26, v109, 0xbb9c, v21
	v_fmac_f16_e32 v21, 0x3b9c, v109
	v_add_f16_e32 v114, v114, v28
	v_sub_f16_e32 v27, v49, v52
	v_fmamk_f16 v30, v122, 0xbb9c, v112
	v_fmac_f16_e32 v112, 0x3b9c, v122
	v_fmamk_f16 v28, v111, 0x3b9c, v20
	v_add_f16_e32 v22, v22, v23
	v_fmac_f16_e32 v26, 0x38b4, v99
	v_fmac_f16_e32 v20, 0xbb9c, v111
	;; [unrolled: 1-line block ×5, first 2 shown]
	v_fmamk_f16 v119, v117, 0xbb9c, v115
	v_fmamk_f16 v121, v118, 0x3b9c, v116
	v_fmac_f16_e32 v30, 0x38b4, v118
	v_fmac_f16_e32 v112, 0xb8b4, v118
	v_add_f16_e32 v23, v25, v27
	v_fmac_f16_e32 v28, 0xb8b4, v107
	v_fmac_f16_e32 v26, 0x34f2, v22
	;; [unrolled: 1-line block ×8, first 2 shown]
	v_add_f16_e32 v113, v113, v31
	v_add_f16_e32 v106, v106, v49
	v_add_f16_e32 v114, v114, v29
	v_fmac_f16_e32 v119, 0xb8b4, v120
	v_fmac_f16_e32 v121, 0x38b4, v122
	v_fmac_f16_e32 v30, 0x34f2, v24
	v_fmac_f16_e32 v28, 0x34f2, v23
	v_mul_f16_e32 v22, 0xbb9c, v26
	v_fmac_f16_e32 v112, 0x34f2, v24
	v_fmac_f16_e32 v20, 0x34f2, v23
	v_mul_f16_e32 v23, 0x34f2, v26
	v_mul_f16_e32 v24, 0xbb9c, v21
	;; [unrolled: 1-line block ×3, first 2 shown]
	v_fmac_f16_e32 v115, 0x38b4, v120
	v_fmac_f16_e32 v116, 0xb8b4, v122
	;; [unrolled: 1-line block ×3, first 2 shown]
	v_mul_f16_e32 v25, 0xb8b4, v93
	v_mul_f16_e32 v26, 0xba79, v93
	v_add_f16_e32 v106, v106, v52
	v_add_f16_e32 v113, v113, v50
	v_add_f16_e32 v114, v114, v51
	v_fmac_f16_e32 v119, 0x34f2, v4
	v_fmac_f16_e32 v121, 0x34f2, v89
	;; [unrolled: 1-line block ×10, first 2 shown]
	v_add_f16_e32 v123, v90, v106
	v_add_f16_e32 v125, v113, v114
	v_fma_f16 v3, v3, v54, -v55
	v_add_f16_e32 v54, v119, v110
	v_add_f16_e32 v55, v121, v108
	v_add_f16_e32 v20, v53, v22
	v_add_f16_e32 v27, v30, v23
	v_add_f16_e32 v4, v0, v24
	v_add_f16_e32 v28, v112, v21
	v_sub_f16_e32 v29, v90, v106
	v_add_f16_e32 v31, v115, v25
	v_add_f16_e32 v49, v116, v26
	v_sub_f16_e32 v50, v113, v114
	v_pack_b32_f16 v123, v123, v125
	v_pack_b32_f16 v48, v54, v55
	v_sub_f16_e32 v22, v53, v22
	v_sub_f16_e32 v23, v30, v23
	v_pack_b32_f16 v20, v20, v27
	v_pack_b32_f16 v4, v4, v28
	;; [unrolled: 1-line block ×4, first 2 shown]
	s_barrier
	buffer_gl0_inv
	v_sub_f16_e32 v29, v119, v110
	v_sub_f16_e32 v31, v121, v108
	ds_write2_b32 v95, v123, v48 offset1:100
	ds_write2_b32 v102, v20, v4 offset0:72 offset1:172
	ds_write2_b32 v104, v27, v28 offset0:144 offset1:244
	v_pack_b32_f16 v20, v22, v23
	v_lshrrev_b32_e32 v22, 16, v5
	v_sub_f16_e32 v23, v115, v25
	v_pack_b32_f16 v4, v29, v31
	v_sub_f16_e32 v0, v0, v24
	v_sub_f16_e32 v21, v112, v21
	v_mul_f16_sdwa v25, v87, v22 dst_sel:DWORD dst_unused:UNUSED_PAD src0_sel:WORD_1 src1_sel:DWORD
	v_sub_f16_e32 v24, v116, v26
	ds_write2_b32 v103, v4, v20 offset0:88 offset1:188
	v_mul_f16_sdwa v4, v87, v5 dst_sel:DWORD dst_unused:UNUSED_PAD src0_sel:WORD_1 src1_sel:DWORD
	v_pack_b32_f16 v0, v0, v21
	v_fmac_f16_e32 v25, v87, v5
	v_pack_b32_f16 v20, v23, v24
	v_sub_f16_e32 v21, v17, v18
	v_fma_f16 v4, v87, v22, -v4
	v_sub_f16_e32 v22, v16, v8
	v_sub_f16_e32 v31, v25, v9
	;; [unrolled: 1-line block ×3, first 2 shown]
	v_add_f16_e32 v5, v10, v2
	ds_write2_b32 v100, v0, v20 offset0:32 offset1:132
	v_add_f16_e32 v23, v8, v9
	v_add_f16_e32 v0, v22, v31
	;; [unrolled: 1-line block ×3, first 2 shown]
	v_sub_f16_e32 v21, v13, v14
	v_sub_f16_e32 v22, v3, v15
	v_fma_f16 v5, -0.5, v5, v7
	v_sub_f16_e32 v24, v16, v25
	v_add_f16_e32 v52, v18, v11
	v_add_f16_e32 v91, v17, v19
	;; [unrolled: 1-line block ×4, first 2 shown]
	v_sub_f16_e32 v26, v12, v10
	v_sub_f16_e32 v27, v4, v2
	v_fma_f16 v23, -0.5, v23, v6
	v_sub_f16_e32 v28, v12, v4
	v_fmamk_f16 v29, v24, 0x3b9c, v5
	v_sub_f16_e32 v30, v8, v9
	v_lshrrev_b32_e32 v49, 16, v1
	v_add_f16_e32 v22, v22, v18
	v_fma_f16 v52, -0.5, v52, v1
	v_sub_f16_e32 v88, v14, v15
	v_fmac_f16_e32 v1, -0.5, v91
	v_add_f16_e32 v26, v26, v27
	v_fmamk_f16 v27, v28, 0xbb9c, v23
	v_sub_f16_e32 v48, v10, v2
	v_fmac_f16_e32 v29, 0x38b4, v30
	v_add_f16_e32 v22, v22, v11
	v_sub_f16_e32 v54, v13, v3
	v_sub_f16_e32 v55, v17, v19
	;; [unrolled: 1-line block ×5, first 2 shown]
	v_fmamk_f16 v18, v88, 0x3b9c, v1
	v_fmac_f16_e32 v1, 0xbb9c, v88
	v_fmac_f16_e32 v27, 0xb8b4, v48
	;; [unrolled: 1-line block ×3, first 2 shown]
	v_add_f16_e32 v50, v49, v13
	v_add_f16_e32 v51, v7, v12
	;; [unrolled: 1-line block ×3, first 2 shown]
	v_fmac_f16_e32 v18, 0xb8b4, v54
	v_fmac_f16_e32 v1, 0x38b4, v54
	;; [unrolled: 1-line block ×3, first 2 shown]
	v_mul_f16_e32 v31, 0xb8b4, v29
	v_mul_f16_e32 v29, 0x3a79, v29
	v_add_f16_e32 v50, v50, v14
	v_add_f16_e32 v53, v14, v15
	v_add_f16_e32 v51, v51, v10
	v_sub_f16_e32 v14, v14, v13
	v_add_f16_e32 v13, v13, v3
	v_fmac_f16_e32 v18, 0x34f2, v11
	v_fmac_f16_e32 v1, 0x34f2, v11
	v_add_f16_e32 v11, v12, v4
	v_fmac_f16_e32 v31, 0x3a79, v27
	v_fmac_f16_e32 v29, 0x38b4, v27
	v_add_f16_e32 v27, v6, v16
	v_fma_f16 v53, -0.5, v53, v49
	v_add_f16_e32 v51, v51, v2
	v_fmac_f16_e32 v49, -0.5, v13
	v_add_f16_e32 v13, v16, v25
	v_fmac_f16_e32 v7, -0.5, v11
	v_add_f16_e32 v27, v27, v8
	v_add_f16_e32 v51, v51, v4
	v_sub_f16_e32 v10, v10, v12
	v_fmac_f16_e32 v6, -0.5, v13
	v_sub_f16_e32 v2, v2, v4
	v_fmamk_f16 v4, v30, 0xbb9c, v7
	v_add_f16_e32 v50, v50, v15
	v_add_f16_e32 v27, v27, v9
	v_sub_f16_e32 v8, v8, v16
	v_sub_f16_e32 v9, v9, v25
	v_fmamk_f16 v12, v48, 0x3b9c, v6
	v_add_f16_e32 v2, v10, v2
	v_fmac_f16_e32 v4, 0x38b4, v24
	v_fmac_f16_e32 v7, 0x3b9c, v30
	v_fmac_f16_e32 v5, 0xbb9c, v24
	v_add_f16_e32 v50, v50, v3
	v_sub_f16_e32 v3, v15, v3
	v_fmamk_f16 v11, v90, 0xbb9c, v49
	v_add_f16_e32 v8, v8, v9
	v_fmac_f16_e32 v6, 0xbb9c, v48
	v_fmac_f16_e32 v12, 0xb8b4, v28
	;; [unrolled: 1-line block ×6, first 2 shown]
	v_add_f16_e32 v3, v14, v3
	v_fmac_f16_e32 v49, 0x3b9c, v90
	v_fmac_f16_e32 v11, 0x38b4, v55
	;; [unrolled: 1-line block ×4, first 2 shown]
	v_mul_f16_e32 v9, 0xbb9c, v4
	v_mul_f16_e32 v4, 0x34f2, v4
	v_fmac_f16_e32 v7, 0x34f2, v2
	v_fmamk_f16 v87, v54, 0xbb9c, v52
	v_fmamk_f16 v89, v55, 0x3b9c, v53
	v_fmac_f16_e32 v52, 0x3b9c, v54
	v_fmac_f16_e32 v53, 0xbb9c, v55
	;; [unrolled: 1-line block ×8, first 2 shown]
	v_mul_f16_e32 v2, 0xbb9c, v7
	v_fmac_f16_e32 v49, 0xb8b4, v55
	v_mul_f16_e32 v7, 0xb4f2, v7
	v_fmac_f16_e32 v87, 0xb8b4, v88
	v_fmac_f16_e32 v89, 0x38b4, v90
	;; [unrolled: 1-line block ×5, first 2 shown]
	v_mul_f16_e32 v0, 0xb8b4, v5
	v_mul_f16_e32 v5, 0xba79, v5
	v_add_f16_e32 v8, v18, v9
	v_add_f16_e32 v10, v11, v4
	v_fmac_f16_e32 v2, 0xb4f2, v6
	v_fmac_f16_e32 v49, 0x34f2, v3
	;; [unrolled: 1-line block ×3, first 2 shown]
	v_add_f16_e32 v22, v22, v19
	v_add_f16_e32 v27, v27, v25
	v_fmac_f16_e32 v87, 0x34f2, v20
	v_fmac_f16_e32 v89, 0x34f2, v21
	;; [unrolled: 1-line block ×6, first 2 shown]
	v_pack_b32_f16 v3, v8, v10
	v_add_f16_e32 v6, v1, v2
	v_add_f16_e32 v8, v49, v7
	;; [unrolled: 1-line block ×6, first 2 shown]
	v_sub_f16_e32 v1, v1, v2
	v_sub_f16_e32 v2, v22, v27
	v_add_f16_e32 v10, v52, v0
	v_sub_f16_e32 v12, v50, v51
	v_add_f16_e32 v13, v53, v5
	v_pack_b32_f16 v6, v6, v8
	v_sub_f16_e32 v8, v87, v31
	v_sub_f16_e32 v9, v18, v9
	v_sub_f16_e32 v14, v89, v29
	v_sub_f16_e32 v4, v11, v4
	v_sub_f16_e32 v0, v52, v0
	v_sub_f16_e32 v7, v49, v7
	v_sub_f16_e32 v5, v53, v5
	v_pack_b32_f16 v19, v92, v93
	v_pack_b32_f16 v91, v91, v95
	;; [unrolled: 1-line block ×8, first 2 shown]
	ds_write2_b32 v94, v19, v91 offset1:100
	ds_write2_b32 v96, v3, v6 offset0:72 offset1:172
	ds_write2_b32 v97, v10, v2 offset0:144 offset1:244
	;; [unrolled: 1-line block ×4, first 2 shown]
	s_waitcnt lgkmcnt(0)
	s_barrier
	buffer_gl0_inv
	ds_read2_b32 v[0:1], v84 offset0:48 offset1:248
	ds_read2_b32 v[2:3], v80 offset0:16 offset1:216
	ds_read2_b32 v[4:5], v70 offset1:200
	ds_read2_b32 v[6:7], v74 offset0:32 offset1:232
	s_waitcnt lgkmcnt(3)
	v_lshrrev_b32_e32 v8, 16, v0
	v_mul_f16_sdwa v9, v35, v0 dst_sel:DWORD dst_unused:UNUSED_PAD src0_sel:WORD_1 src1_sel:DWORD
	s_waitcnt lgkmcnt(2)
	v_lshrrev_b32_e32 v10, 16, v3
	v_mul_f16_sdwa v11, v36, v3 dst_sel:DWORD dst_unused:UNUSED_PAD src0_sel:WORD_1 src1_sel:DWORD
	;; [unrolled: 3-line block ×3, first 2 shown]
	v_fma_f16 v13, v35, v8, -v9
	v_mul_f16_sdwa v9, v37, v4 dst_sel:DWORD dst_unused:UNUSED_PAD src0_sel:WORD_1 src1_sel:DWORD
	v_fma_f16 v11, v36, v10, -v11
	v_mul_f16_sdwa v10, v36, v10 dst_sel:DWORD dst_unused:UNUSED_PAD src0_sel:WORD_1 src1_sel:DWORD
	v_lshrrev_b32_e32 v15, 16, v1
	v_lshrrev_b32_e32 v18, 16, v5
	v_fma_f16 v16, v37, v12, -v9
	v_mul_f16_sdwa v12, v37, v12 dst_sel:DWORD dst_unused:UNUSED_PAD src0_sel:WORD_1 src1_sel:DWORD
	ds_read2_b32 v[8:9], v78 offset1:200
	v_fmac_f16_e32 v10, v36, v3
	v_mul_f16_sdwa v17, v44, v15 dst_sel:DWORD dst_unused:UNUSED_PAD src0_sel:WORD_1 src1_sel:DWORD
	v_fmac_f16_e32 v14, v35, v0
	v_fmac_f16_e32 v12, v37, v4
	ds_read2_b32 v[3:4], v69 offset0:16 offset1:216
	v_mul_f16_sdwa v19, v46, v18 dst_sel:DWORD dst_unused:UNUSED_PAD src0_sel:WORD_1 src1_sel:DWORD
	v_mul_f16_sdwa v0, v44, v1 dst_sel:DWORD dst_unused:UNUSED_PAD src0_sel:WORD_1 src1_sel:DWORD
	v_fmac_f16_e32 v17, v44, v1
	v_mul_f16_sdwa v1, v46, v5 dst_sel:DWORD dst_unused:UNUSED_PAD src0_sel:WORD_1 src1_sel:DWORD
	s_waitcnt lgkmcnt(2)
	v_lshrrev_b32_e32 v20, 16, v6
	v_mul_f16_sdwa v21, v45, v6 dst_sel:DWORD dst_unused:UNUSED_PAD src0_sel:WORD_1 src1_sel:DWORD
	v_fmac_f16_e32 v19, v46, v5
	v_lshrrev_b32_e32 v5, 16, v7
	v_fma_f16 v15, v44, v15, -v0
	v_mul_f16_sdwa v0, v42, v7 dst_sel:DWORD dst_unused:UNUSED_PAD src0_sel:WORD_1 src1_sel:DWORD
	v_fma_f16 v18, v46, v18, -v1
	v_fma_f16 v21, v45, v20, -v21
	v_mul_f16_sdwa v20, v45, v20 dst_sel:DWORD dst_unused:UNUSED_PAD src0_sel:WORD_1 src1_sel:DWORD
	v_mul_f16_sdwa v22, v42, v5 dst_sel:DWORD dst_unused:UNUSED_PAD src0_sel:WORD_1 src1_sel:DWORD
	v_fma_f16 v25, v42, v5, -v0
	ds_read2_b32 v[0:1], v73 offset0:48 offset1:248
	s_waitcnt lgkmcnt(2)
	v_lshrrev_b32_e32 v23, 16, v8
	v_mul_f16_sdwa v24, v41, v8 dst_sel:DWORD dst_unused:UNUSED_PAD src0_sel:WORD_1 src1_sel:DWORD
	v_fmac_f16_e32 v20, v45, v6
	v_fmac_f16_e32 v22, v42, v7
	s_waitcnt lgkmcnt(1)
	v_lshrrev_b32_e32 v7, 16, v3
	ds_read2_b32 v[5:6], v85 offset0:32 offset1:232
	v_fma_f16 v24, v41, v23, -v24
	v_lshrrev_b32_e32 v26, 16, v9
	v_mul_f16_sdwa v23, v41, v23 dst_sel:DWORD dst_unused:UNUSED_PAD src0_sel:WORD_1 src1_sel:DWORD
	v_mul_f16_sdwa v27, v43, v3 dst_sel:DWORD dst_unused:UNUSED_PAD src0_sel:WORD_1 src1_sel:DWORD
	;; [unrolled: 1-line block ×3, first 2 shown]
	v_lshrrev_b32_e32 v30, 16, v4
	v_mul_f16_sdwa v29, v38, v26 dst_sel:DWORD dst_unused:UNUSED_PAD src0_sel:WORD_1 src1_sel:DWORD
	v_fmac_f16_e32 v23, v41, v8
	v_fma_f16 v27, v43, v7, -v27
	ds_read2_b32 v[7:8], v83 offset1:200
	v_fmac_f16_e32 v28, v43, v3
	v_mul_f16_sdwa v3, v40, v30 dst_sel:DWORD dst_unused:UNUSED_PAD src0_sel:WORD_1 src1_sel:DWORD
	v_fmac_f16_e32 v29, v38, v9
	v_mul_f16_sdwa v9, v38, v9 dst_sel:DWORD dst_unused:UNUSED_PAD src0_sel:WORD_1 src1_sel:DWORD
	v_lshrrev_b32_e32 v31, 16, v2
	v_mul_f16_sdwa v35, v40, v4 dst_sel:DWORD dst_unused:UNUSED_PAD src0_sel:WORD_1 src1_sel:DWORD
	v_fmac_f16_e32 v3, v40, v4
	s_waitcnt lgkmcnt(2)
	v_lshrrev_b32_e32 v4, 16, v1
	v_fma_f16 v9, v38, v26, -v9
	v_mul_f16_sdwa v26, v33, v31 dst_sel:DWORD dst_unused:UNUSED_PAD src0_sel:WORD_1 src1_sel:DWORD
	s_waitcnt lgkmcnt(1)
	v_lshrrev_b32_e32 v37, 16, v6
	v_mul_f16_sdwa v38, v34, v1 dst_sel:DWORD dst_unused:UNUSED_PAD src0_sel:WORD_1 src1_sel:DWORD
	v_mul_f16_sdwa v36, v34, v4 dst_sel:DWORD dst_unused:UNUSED_PAD src0_sel:WORD_1 src1_sel:DWORD
	v_fma_f16 v30, v40, v30, -v35
	v_fmac_f16_e32 v26, v33, v2
	v_mul_f16_sdwa v2, v33, v2 dst_sel:DWORD dst_unused:UNUSED_PAD src0_sel:WORD_1 src1_sel:DWORD
	v_mul_f16_sdwa v40, v32, v6 dst_sel:DWORD dst_unused:UNUSED_PAD src0_sel:WORD_1 src1_sel:DWORD
	v_fmac_f16_e32 v36, v34, v1
	v_mul_f16_sdwa v1, v32, v37 dst_sel:DWORD dst_unused:UNUSED_PAD src0_sel:WORD_1 src1_sel:DWORD
	v_fma_f16 v4, v34, v4, -v38
	v_fma_f16 v2, v33, v31, -v2
	s_waitcnt lgkmcnt(0)
	v_lshrrev_b32_e32 v31, 16, v7
	v_sub_f16_e32 v26, v7, v26
	v_fmac_f16_e32 v1, v32, v6
	v_fma_f16 v6, v32, v37, -v40
	v_sub_f16_e32 v12, v14, v12
	v_sub_f16_e32 v33, v31, v2
	v_fma_f16 v7, v7, 2.0, -v26
	v_sub_f16_e32 v34, v1, v36
	v_sub_f16_e32 v2, v6, v4
	;; [unrolled: 1-line block ×3, first 2 shown]
	v_fma_f16 v10, v31, 2.0, -v33
	v_lshrrev_b32_e32 v31, 16, v8
	v_fma_f16 v1, v1, 2.0, -v34
	v_sub_f16_e32 v16, v13, v16
	v_fma_f16 v6, v6, 2.0, -v2
	v_add_f16_e32 v37, v26, v2
	v_sub_f16_e32 v11, v31, v11
	v_sub_f16_e32 v36, v7, v1
	ds_read2_b32 v[1:2], v86 offset0:16 offset1:216
	v_fma_f16 v8, v8, 2.0, -v4
	v_fma_f16 v14, v14, 2.0, -v12
	;; [unrolled: 1-line block ×4, first 2 shown]
	v_sub_f16_e32 v6, v10, v6
	v_sub_f16_e32 v34, v33, v34
	;; [unrolled: 1-line block ×3, first 2 shown]
	v_fma_f16 v7, v7, 2.0, -v36
	v_sub_f16_e32 v13, v31, v13
	v_fma_f16 v10, v10, 2.0, -v6
	v_fma_f16 v26, v26, 2.0, -v37
	;; [unrolled: 1-line block ×5, first 2 shown]
	v_pack_b32_f16 v7, v7, v10
	v_pack_b32_f16 v6, v36, v6
	;; [unrolled: 1-line block ×5, first 2 shown]
	v_lshrrev_b32_e32 v35, 16, v0
	v_mul_f16_sdwa v32, v39, v0 dst_sel:DWORD dst_unused:UNUSED_PAD src0_sel:WORD_1 src1_sel:DWORD
	ds_write_b32 v83, v10 offset:4000
	ds_write_b32 v83, v6 offset:8000
	;; [unrolled: 1-line block ×3, first 2 shown]
	ds_write2_b32 v83, v7, v8 offset1:200
	s_waitcnt lgkmcnt(4)
	v_lshrrev_b32_e32 v7, 16, v1
	v_add_f16_e32 v16, v4, v16
	v_sub_f16_e32 v12, v11, v12
	v_fma_f16 v32, v39, v35, -v32
	v_mul_f16_sdwa v35, v39, v35 dst_sel:DWORD dst_unused:UNUSED_PAD src0_sel:WORD_1 src1_sel:DWORD
	v_sub_f16_e32 v21, v7, v21
	v_sub_f16_e32 v18, v15, v18
	v_lshrrev_b32_e32 v8, 16, v2
	v_sub_f16_e32 v19, v17, v19
	v_fmac_f16_e32 v35, v39, v0
	v_sub_f16_e32 v0, v1, v20
	v_fma_f16 v4, v4, 2.0, -v16
	v_fma_f16 v11, v11, 2.0, -v12
	v_pack_b32_f16 v13, v14, v13
	v_fma_f16 v7, v7, 2.0, -v21
	v_fma_f16 v14, v15, 2.0, -v18
	v_sub_f16_e32 v6, v2, v22
	v_fma_f16 v1, v1, 2.0, -v0
	v_fma_f16 v17, v17, 2.0, -v19
	v_pack_b32_f16 v4, v4, v11
	ds_write_b32 v83, v13 offset:8800
	v_pack_b32_f16 v11, v16, v12
	v_sub_f16_e32 v12, v7, v14
	v_sub_f16_e32 v13, v8, v25
	;; [unrolled: 1-line block ×4, first 2 shown]
	v_lshrrev_b32_e32 v20, 16, v5
	v_fma_f16 v2, v2, 2.0, -v6
	v_sub_f16_e32 v15, v1, v17
	v_add_f16_e32 v17, v0, v18
	v_sub_f16_e32 v18, v21, v19
	v_fma_f16 v8, v8, 2.0, -v13
	v_fma_f16 v19, v23, 2.0, -v14
	;; [unrolled: 1-line block ×3, first 2 shown]
	v_sub_f16_e32 v10, v5, v35
	v_sub_f16_e32 v23, v20, v32
	;; [unrolled: 1-line block ×6, first 2 shown]
	v_fma_f16 v5, v5, 2.0, -v10
	v_fma_f16 v20, v20, 2.0, -v23
	v_fma_f16 v25, v29, 2.0, -v3
	v_fma_f16 v9, v9, 2.0, -v24
	v_fma_f16 v1, v1, 2.0, -v15
	v_fma_f16 v7, v7, 2.0, -v12
	v_fma_f16 v0, v0, 2.0, -v17
	v_fma_f16 v21, v21, 2.0, -v18
	v_fma_f16 v2, v2, 2.0, -v19
	v_fma_f16 v8, v8, 2.0, -v22
	v_sub_f16_e32 v25, v5, v25
	v_sub_f16_e32 v9, v20, v9
	v_add_f16_e32 v16, v6, v16
	v_sub_f16_e32 v14, v13, v14
	v_add_f16_e32 v24, v10, v24
	v_sub_f16_e32 v3, v23, v3
	v_pack_b32_f16 v0, v0, v21
	v_pack_b32_f16 v1, v1, v7
	;; [unrolled: 1-line block ×3, first 2 shown]
	v_fma_f16 v5, v5, 2.0, -v25
	v_fma_f16 v20, v20, 2.0, -v9
	;; [unrolled: 1-line block ×6, first 2 shown]
	ds_write_b32 v83, v11 offset:12800
	v_pack_b32_f16 v7, v15, v12
	v_pack_b32_f16 v8, v19, v22
	ds_write2_b32 v84, v4, v0 offset0:48 offset1:248
	v_pack_b32_f16 v0, v17, v18
	ds_write2_b32 v86, v1, v2 offset0:16 offset1:216
	v_pack_b32_f16 v2, v16, v14
	v_pack_b32_f16 v4, v5, v20
	;; [unrolled: 1-line block ×6, first 2 shown]
	ds_write2_b32 v74, v7, v8 offset0:32 offset1:232
	ds_write2_b32 v105, v0, v2 offset0:8 offset1:208
	ds_write_b32 v83, v4 offset:3200
	ds_write2_b32 v78, v1, v5 offset1:200
	ds_write_b32 v83, v6 offset:11200
	ds_write_b32 v83, v3 offset:15200
	s_waitcnt lgkmcnt(0)
	s_barrier
	buffer_gl0_inv
	ds_read2_b32 v[12:13], v83 offset1:200
	ds_read2_b32 v[6:7], v86 offset0:16 offset1:216
	s_waitcnt lgkmcnt(1)
	v_lshrrev_b32_e32 v2, 16, v12
	v_mul_f16_sdwa v3, v82, v12 dst_sel:DWORD dst_unused:UNUSED_PAD src0_sel:WORD_1 src1_sel:DWORD
	s_waitcnt lgkmcnt(0)
	v_lshrrev_b32_e32 v9, 16, v6
	v_mul_f16_sdwa v0, v82, v2 dst_sel:DWORD dst_unused:UNUSED_PAD src0_sel:WORD_1 src1_sel:DWORD
	v_fma_f16 v2, v82, v2, -v3
	v_fmac_f16_e32 v0, v82, v12
	v_cvt_f32_f16_e32 v2, v2
	v_mul_f16_sdwa v12, v81, v9 dst_sel:DWORD dst_unused:UNUSED_PAD src0_sel:WORD_1 src1_sel:DWORD
	v_cvt_f32_f16_e32 v0, v0
	v_cvt_f64_f32_e32 v[2:3], v2
	v_fmac_f16_e32 v12, v81, v6
	v_mul_f16_sdwa v6, v81, v6 dst_sel:DWORD dst_unused:UNUSED_PAD src0_sel:WORD_1 src1_sel:DWORD
	v_cvt_f64_f32_e32 v[0:1], v0
	v_fma_f16 v6, v81, v9, -v6
	v_mul_f64 v[3:4], v[2:3], s[2:3]
	v_mul_f64 v[0:1], v[0:1], s[2:3]
	v_and_or_b32 v3, 0x1ff, v4, v3
	v_lshrrev_b32_e32 v10, 8, v4
	v_bfe_u32 v11, v4, 20, 11
	v_and_or_b32 v0, 0x1ff, v1, v0
	v_lshrrev_b32_e32 v2, 8, v1
	v_bfe_u32 v5, v1, 20, 11
	v_cmp_ne_u32_e32 vcc_lo, 0, v0
	v_cndmask_b32_e64 v0, 0, 1, vcc_lo
	v_cmp_ne_u32_e32 vcc_lo, 0, v3
	v_and_or_b32 v0, 0xffe, v2, v0
	v_sub_nc_u32_e32 v2, 0x3f1, v5
	v_cndmask_b32_e64 v3, 0, 1, vcc_lo
	v_or_b32_e32 v8, 0x1000, v0
	v_med3_i32 v2, v2, 0, 13
	v_and_or_b32 v15, 0xffe, v10, v3
	v_sub_nc_u32_e32 v3, 0x3f1, v11
	v_lshrrev_b32_e32 v14, v2, v8
	v_or_b32_e32 v10, 0x1000, v15
	v_med3_i32 v16, v3, 0, 13
	v_cvt_f32_f16_e32 v3, v12
	v_add_nc_u32_e32 v12, 0xfffffc10, v5
	v_lshlrev_b32_e32 v2, v2, v14
	v_lshrrev_b32_e32 v5, v16, v10
	v_cmp_ne_u32_e32 vcc_lo, v2, v8
	v_cvt_f64_f32_e32 v[2:3], v3
	v_lshlrev_b32_e32 v16, v16, v5
	v_cndmask_b32_e64 v8, 0, 1, vcc_lo
	v_cmp_gt_i32_e32 vcc_lo, 1, v12
	v_or_b32_e32 v8, v14, v8
	v_lshl_or_b32 v14, v12, 12, v0
	v_cndmask_b32_e32 v8, v14, v8, vcc_lo
	v_cmp_ne_u32_e32 vcc_lo, v16, v10
	v_add_nc_u32_e32 v16, 0xfffffc10, v11
	v_and_b32_e32 v9, 7, v8
	v_cndmask_b32_e64 v10, 0, 1, vcc_lo
	v_lshrrev_b32_e32 v14, 2, v8
	v_lshl_or_b32 v11, v16, 12, v15
	v_cmp_gt_i32_e64 s1, 1, v16
	v_cmp_lt_i32_e32 vcc_lo, 5, v9
	v_or_b32_e32 v10, v5, v10
	v_cvt_f32_f16_e32 v5, v6
	v_cmp_eq_u32_e64 s0, 3, v9
	v_mul_f64 v[8:9], v[2:3], s[2:3]
	v_cndmask_b32_e64 v2, v11, v10, s1
	v_cvt_f64_f32_e32 v[5:6], v5
	s_or_b32 vcc_lo, s0, vcc_lo
	v_mad_u64_u32 v[10:11], null, s10, v47, 0
	v_add_co_ci_u32_e32 v3, vcc_lo, 0, v14, vcc_lo
	v_cmp_ne_u32_e32 vcc_lo, 0, v0
	v_and_b32_e32 v14, 7, v2
	v_cmp_eq_u32_e64 s1, 0x40f, v12
	v_cndmask_b32_e64 v0, 0, 1, vcc_lo
	v_cmp_gt_i32_e32 vcc_lo, 31, v12
	v_cmp_eq_u32_e64 s0, 3, v14
	v_lshl_or_b32 v17, v0, 9, 0x7c00
	v_cndmask_b32_e32 v3, 0x7c00, v3, vcc_lo
	v_cmp_lt_i32_e32 vcc_lo, 5, v14
	v_mov_b32_e32 v0, v11
	v_lshrrev_b32_e32 v11, 2, v2
	v_lshrrev_b32_e32 v19, 8, v9
	v_cndmask_b32_e64 v12, v3, v17, s1
	s_or_b32 vcc_lo, s0, vcc_lo
	v_lshrrev_b32_e32 v17, 16, v1
	v_and_or_b32 v1, 0x1ff, v9, v8
	v_add_co_ci_u32_e32 v8, vcc_lo, 0, v11, vcc_lo
	ds_read2_b32 v[2:3], v85 offset0:32 offset1:232
	v_cmp_ne_u32_e32 vcc_lo, 0, v15
	v_mul_f64 v[5:6], v[5:6], s[2:3]
	v_mad_u64_u32 v[14:15], null, s8, v77, 0
	v_bfe_u32 v20, v9, 20, 11
	v_cndmask_b32_e64 v11, 0, 1, vcc_lo
	v_cmp_gt_i32_e32 vcc_lo, 31, v16
	v_and_or_b32 v12, 0x8000, v17, v12
	v_lshrrev_b32_e32 v27, 16, v9
	v_lshl_or_b32 v11, v11, 9, 0x7c00
	v_cndmask_b32_e32 v8, 0x7c00, v8, vcc_lo
	v_cmp_ne_u32_e32 vcc_lo, 0, v1
	v_mad_u64_u32 v[0:1], null, s11, v47, v[0:1]
	v_mov_b32_e32 v1, v15
	v_and_b32_e32 v12, 0xffff, v12
	v_cndmask_b32_e64 v18, 0, 1, vcc_lo
	v_cmp_eq_u32_e32 vcc_lo, 0x40f, v16
	v_lshrrev_b32_e32 v16, 16, v4
	v_and_or_b32 v18, 0xffe, v19, v18
	s_waitcnt lgkmcnt(0)
	v_lshrrev_b32_e32 v19, 16, v2
	v_cndmask_b32_e32 v8, v8, v11, vcc_lo
	v_sub_nc_u32_e32 v11, 0x3f1, v20
	v_and_or_b32 v15, 0x1ff, v6, v5
	v_or_b32_e32 v21, 0x1000, v18
	v_mul_f16_sdwa v17, v79, v19 dst_sel:DWORD dst_unused:UNUSED_PAD src0_sel:WORD_1 src1_sel:DWORD
	v_mad_u64_u32 v[4:5], null, s9, v77, v[1:2]
	v_med3_i32 v11, v11, 0, 13
	v_cmp_ne_u32_e32 vcc_lo, 0, v15
	v_fmac_f16_e32 v17, v79, v2
	v_lshrrev_b32_e32 v5, 8, v6
	v_bfe_u32 v23, v6, 20, 11
	v_lshrrev_b32_e32 v22, v11, v21
	v_cndmask_b32_e64 v1, 0, 1, vcc_lo
	v_cvt_f32_f16_e32 v15, v17
	v_and_or_b32 v8, 0x8000, v16, v8
	v_add_nc_u32_e32 v20, 0xfffffc10, v20
	v_mul_f16_sdwa v2, v79, v2 dst_sel:DWORD dst_unused:UNUSED_PAD src0_sel:WORD_1 src1_sel:DWORD
	v_and_or_b32 v24, 0xffe, v5, v1
	v_lshlrev_b32_e32 v1, v11, v22
	v_cvt_f64_f32_e32 v[16:17], v15
	v_sub_nc_u32_e32 v5, 0x3f1, v23
	v_mov_b32_e32 v11, v0
	v_or_b32_e32 v25, 0x1000, v24
	v_cmp_ne_u32_e32 vcc_lo, v1, v21
	v_fma_f16 v2, v79, v19, -v2
	v_med3_i32 v5, v5, 0, 13
	v_mov_b32_e32 v15, v4
	v_lshl_or_b32 v8, v8, 16, v12
	v_cndmask_b32_e64 v1, 0, 1, vcc_lo
	v_cmp_gt_i32_e32 vcc_lo, 1, v20
	v_lshrrev_b32_e32 v21, v5, v25
	v_cvt_f32_f16_e32 v2, v2
	v_lshrrev_b32_e32 v6, 16, v6
	v_or_b32_e32 v0, v22, v1
	v_lshl_or_b32 v1, v20, 12, v18
	v_lshlrev_b32_e32 v19, v5, v21
	v_lshlrev_b64 v[4:5], 2, v[14:15]
	v_cvt_f64_f32_e32 v[14:15], v2
	v_cndmask_b32_e32 v12, v1, v0, vcc_lo
	v_lshlrev_b64 v[0:1], 2, v[10:11]
	v_mul_f64 v[10:11], v[16:17], s[2:3]
	v_cmp_ne_u32_e32 vcc_lo, v19, v25
	v_add_nc_u32_e32 v19, 0xfffffc10, v23
	v_and_b32_e32 v22, 7, v12
	v_lshrrev_b32_e32 v12, 2, v12
	v_add_co_u32 v0, s1, s4, v0
	v_cndmask_b32_e64 v16, 0, 1, vcc_lo
	v_cmp_lt_i32_e32 vcc_lo, 5, v22
	v_cmp_eq_u32_e64 s0, 3, v22
	v_add_co_ci_u32_e64 v17, s1, s5, v1, s1
	v_or_b32_e32 v2, v21, v16
	v_lshl_or_b32 v16, v19, 12, v24
	s_or_b32 vcc_lo, s0, vcc_lo
	v_cmp_gt_i32_e64 s1, 1, v19
	v_add_co_ci_u32_e32 v12, vcc_lo, 0, v12, vcc_lo
	v_cmp_ne_u32_e32 vcc_lo, 0, v18
	v_mul_f64 v[14:15], v[14:15], s[2:3]
	v_cndmask_b32_e64 v16, v16, v2, s1
	ds_read2_b32 v[1:2], v84 offset0:48 offset1:248
	v_and_or_b32 v10, 0x1ff, v11, v10
	v_cndmask_b32_e64 v18, 0, 1, vcc_lo
	v_cmp_gt_i32_e32 vcc_lo, 31, v20
	v_and_b32_e32 v21, 7, v16
	v_lshrrev_b32_e32 v16, 2, v16
	v_bfe_u32 v22, v11, 20, 11
	v_lshl_or_b32 v18, v18, 9, 0x7c00
	v_cndmask_b32_e32 v12, 0x7c00, v12, vcc_lo
	v_add_co_u32 v4, vcc_lo, v0, v4
	v_add_co_ci_u32_e32 v5, vcc_lo, v17, v5, vcc_lo
	v_cmp_ne_u32_e32 vcc_lo, 0, v10
	v_cmp_eq_u32_e64 s0, 3, v21
	v_lshrrev_b32_e32 v10, 8, v11
	v_cmp_eq_u32_e64 s1, 0x40f, v20
	global_store_dword v[4:5], v8, off
	v_cndmask_b32_e64 v0, 0, 1, vcc_lo
	v_cmp_lt_i32_e32 vcc_lo, 5, v21
	s_waitcnt lgkmcnt(0)
	v_lshrrev_b32_e32 v21, 16, v1
	v_cndmask_b32_e64 v12, v12, v18, s1
	v_and_or_b32 v14, 0x1ff, v15, v14
	v_and_or_b32 v0, 0xffe, v10, v0
	s_or_b32 vcc_lo, s0, vcc_lo
	v_sub_nc_u32_e32 v10, 0x3f1, v22
	v_add_co_ci_u32_e32 v16, vcc_lo, 0, v16, vcc_lo
	v_cmp_ne_u32_e32 vcc_lo, 0, v24
	v_mul_f16_sdwa v17, v76, v21 dst_sel:DWORD dst_unused:UNUSED_PAD src0_sel:WORD_1 src1_sel:DWORD
	v_or_b32_e32 v18, 0x1000, v0
	v_med3_i32 v10, v10, 0, 13
	v_lshrrev_b32_e32 v25, 8, v15
	v_cndmask_b32_e64 v23, 0, 1, vcc_lo
	v_cmp_gt_i32_e32 vcc_lo, 31, v19
	v_fmac_f16_e32 v17, v76, v1
	v_lshrrev_b32_e32 v20, v10, v18
	v_bfe_u32 v26, v15, 20, 11
	v_lshl_or_b32 v23, v23, 9, 0x7c00
	v_cndmask_b32_e32 v24, 0x7c00, v16, vcc_lo
	v_cmp_ne_u32_e32 vcc_lo, 0, v14
	v_cvt_f32_f16_e32 v17, v17
	v_lshlrev_b32_e32 v10, v10, v20
	v_mul_f16_sdwa v1, v76, v1 dst_sel:DWORD dst_unused:UNUSED_PAD src0_sel:WORD_1 src1_sel:DWORD
	v_and_or_b32 v12, 0x8000, v27, v12
	v_cndmask_b32_e64 v14, 0, 1, vcc_lo
	v_cvt_f64_f32_e32 v[16:17], v17
	v_cmp_ne_u32_e32 vcc_lo, v10, v18
	v_add_nc_u32_e32 v18, 0xfffffc10, v22
	v_fma_f16 v1, v76, v21, -v1
	v_and_or_b32 v10, 0xffe, v25, v14
	v_sub_nc_u32_e32 v14, 0x3f1, v26
	v_cndmask_b32_e64 v9, 0, 1, vcc_lo
	v_cmp_eq_u32_e32 vcc_lo, 0x40f, v19
	v_cvt_f32_f16_e32 v1, v1
	v_or_b32_e32 v22, 0x1000, v10
	v_med3_i32 v14, v14, 0, 13
	v_or_b32_e32 v9, v20, v9
	v_cndmask_b32_e32 v19, v24, v23, vcc_lo
	v_lshl_or_b32 v20, v18, 12, v0
	v_cmp_gt_i32_e32 vcc_lo, 1, v18
	v_lshrrev_b32_e32 v23, v14, v22
	v_and_b32_e32 v12, 0xffff, v12
	v_and_or_b32 v6, 0x8000, v6, v19
	v_add_nc_u32_e32 v19, 0xfffffc10, v26
	v_cndmask_b32_e32 v20, v20, v9, vcc_lo
	v_lshlrev_b32_e32 v14, v14, v23
	v_lshrrev_b32_e32 v11, 16, v11
	v_mul_f64 v[8:9], v[16:17], s[2:3]
	v_lshl_or_b32 v12, v6, 16, v12
	v_and_b32_e32 v16, 7, v20
	v_cmp_ne_u32_e64 s0, v14, v22
	v_lshrrev_b32_e32 v15, 16, v15
	s_mul_i32 s1, s9, 0x640
	s_mul_hi_u32 s4, s8, 0x640
	v_cmp_lt_i32_e32 vcc_lo, 5, v16
	v_cndmask_b32_e64 v14, 0, 1, s0
	v_cmp_eq_u32_e64 s0, 3, v16
	v_cvt_f64_f32_e32 v[16:17], v1
	v_lshrrev_b32_e32 v1, 2, v20
	v_lshl_or_b32 v20, v19, 12, v10
	v_or_b32_e32 v14, v23, v14
	s_or_b32 vcc_lo, s0, vcc_lo
	s_mul_i32 s5, s8, 0x640
	v_add_co_ci_u32_e32 v21, vcc_lo, 0, v1, vcc_lo
	v_cmp_ne_u32_e32 vcc_lo, 0, v0
	ds_read2_b32 v[0:1], v78 offset1:200
	s_add_i32 s4, s4, s1
	v_and_or_b32 v8, 0x1ff, v9, v8
	v_cndmask_b32_e64 v22, 0, 1, vcc_lo
	v_cmp_gt_i32_e32 vcc_lo, 1, v19
	v_bfe_u32 v23, v9, 20, 11
	v_cndmask_b32_e32 v14, v20, v14, vcc_lo
	v_cmp_gt_i32_e32 vcc_lo, 31, v18
	v_lshl_or_b32 v20, v22, 9, 0x7c00
	v_mul_f64 v[16:17], v[16:17], s[2:3]
	v_lshrrev_b32_e32 v22, 8, v9
	v_cndmask_b32_e32 v6, 0x7c00, v21, vcc_lo
	v_cmp_ne_u32_e32 vcc_lo, 0, v8
	v_and_b32_e32 v21, 7, v14
	v_lshrrev_b32_e32 v14, 2, v14
	v_cndmask_b32_e64 v8, 0, 1, vcc_lo
	v_cmp_eq_u32_e32 vcc_lo, 0x40f, v18
	v_cmp_eq_u32_e64 s0, 3, v21
	v_sub_nc_u32_e32 v18, 0x3f1, v23
	v_and_or_b32 v8, 0xffe, v22, v8
	v_cndmask_b32_e32 v6, v6, v20, vcc_lo
	v_cmp_lt_i32_e32 vcc_lo, 5, v21
	s_waitcnt lgkmcnt(0)
	v_lshrrev_b32_e32 v21, 16, v0
	v_med3_i32 v18, v18, 0, 13
	v_or_b32_e32 v20, 0x1000, v8
	v_and_or_b32 v6, 0x8000, v11, v6
	s_or_b32 vcc_lo, s0, vcc_lo
	v_mul_f16_sdwa v22, v75, v21 dst_sel:DWORD dst_unused:UNUSED_PAD src0_sel:WORD_1 src1_sel:DWORD
	v_add_co_ci_u32_e32 v14, vcc_lo, 0, v14, vcc_lo
	v_cmp_ne_u32_e32 vcc_lo, 0, v10
	v_lshrrev_b32_e32 v24, v18, v20
	v_fmac_f16_e32 v22, v75, v0
	v_and_or_b32 v16, 0x1ff, v17, v16
	v_mul_f16_sdwa v0, v75, v0 dst_sel:DWORD dst_unused:UNUSED_PAD src0_sel:WORD_1 src1_sel:DWORD
	v_cndmask_b32_e64 v10, 0, 1, vcc_lo
	v_cmp_gt_i32_e32 vcc_lo, 31, v19
	v_cvt_f32_f16_e32 v22, v22
	v_lshlrev_b32_e32 v18, v18, v24
	v_fma_f16 v0, v75, v21, -v0
	v_lshl_or_b32 v10, v10, 9, 0x7c00
	v_cndmask_b32_e32 v14, 0x7c00, v14, vcc_lo
	v_cmp_eq_u32_e32 vcc_lo, 0x40f, v19
	v_lshrrev_b32_e32 v19, 8, v17
	v_and_b32_e32 v6, 0xffff, v6
	v_cvt_f32_f16_e32 v0, v0
	v_cndmask_b32_e32 v14, v14, v10, vcc_lo
	v_cmp_ne_u32_e32 vcc_lo, 0, v16
	v_cvt_f64_f32_e32 v[10:11], v22
	v_bfe_u32 v22, v17, 20, 11
	v_cndmask_b32_e64 v16, 0, 1, vcc_lo
	v_cmp_ne_u32_e32 vcc_lo, v18, v20
	v_add_nc_u32_e32 v20, 0xfffffc10, v23
	v_and_or_b32 v16, 0xffe, v19, v16
	v_cndmask_b32_e64 v18, 0, 1, vcc_lo
	v_sub_nc_u32_e32 v19, 0x3f1, v22
	v_lshl_or_b32 v23, v20, 12, v8
	v_cmp_gt_i32_e32 vcc_lo, 1, v20
	v_or_b32_e32 v18, v24, v18
	v_or_b32_e32 v24, 0x1000, v16
	v_med3_i32 v19, v19, 0, 13
	v_cndmask_b32_e32 v23, v23, v18, vcc_lo
	v_and_or_b32 v18, 0x8000, v15, v14
	v_lshrrev_b32_e32 v25, v19, v24
	v_mul_f64 v[10:11], v[10:11], s[2:3]
	v_add_co_u32 v14, vcc_lo, v4, s5
	v_and_b32_e32 v21, 7, v23
	v_lshlrev_b32_e32 v26, v19, v25
	v_add_co_ci_u32_e32 v15, vcc_lo, s4, v5, vcc_lo
	v_lshl_or_b32 v4, v18, 16, v6
	v_cmp_lt_i32_e32 vcc_lo, 5, v21
	v_cmp_eq_u32_e64 s0, 3, v21
	v_cvt_f64_f32_e32 v[18:19], v0
	v_lshrrev_b32_e32 v0, 2, v23
	v_cmp_ne_u32_e64 s1, v26, v24
	v_add_nc_u32_e32 v21, 0xfffffc10, v22
	s_or_b32 vcc_lo, s0, vcc_lo
	v_add_co_ci_u32_e32 v0, vcc_lo, 0, v0, vcc_lo
	v_cndmask_b32_e64 v5, 0, 1, s1
	v_cmp_ne_u32_e32 vcc_lo, 0, v8
	v_lshl_or_b32 v23, v21, 12, v16
	v_and_or_b32 v10, 0x1ff, v11, v10
	v_or_b32_e32 v22, v25, v5
	v_cndmask_b32_e64 v8, 0, 1, vcc_lo
	v_cmp_gt_i32_e32 vcc_lo, 1, v21
	ds_read2_b32 v[5:6], v80 offset0:16 offset1:216
	v_lshrrev_b32_e32 v24, 8, v11
	v_bfe_u32 v25, v11, 20, 11
	v_lshl_or_b32 v8, v8, 9, 0x7c00
	v_cndmask_b32_e32 v22, v23, v22, vcc_lo
	v_cmp_gt_i32_e32 vcc_lo, 31, v20
	v_mul_f64 v[18:19], v[18:19], s[2:3]
	v_and_b32_e32 v23, 7, v22
	v_cndmask_b32_e32 v0, 0x7c00, v0, vcc_lo
	v_cmp_ne_u32_e32 vcc_lo, 0, v10
	v_cmp_eq_u32_e64 s0, 3, v23
	v_cndmask_b32_e64 v10, 0, 1, vcc_lo
	v_cmp_eq_u32_e32 vcc_lo, 0x40f, v20
	v_lshrrev_b32_e32 v20, 2, v22
	v_and_or_b32 v24, 0xffe, v24, v10
	v_cndmask_b32_e32 v0, v0, v8, vcc_lo
	v_cmp_lt_i32_e32 vcc_lo, 5, v23
	v_lshrrev_b32_e32 v8, 16, v9
	v_sub_nc_u32_e32 v9, 0x3f1, v25
	s_waitcnt lgkmcnt(0)
	v_lshrrev_b32_e32 v10, 16, v5
	v_or_b32_e32 v22, 0x1000, v24
	s_or_b32 vcc_lo, s0, vcc_lo
	v_and_or_b32 v18, 0x1ff, v19, v18
	v_add_co_ci_u32_e32 v20, vcc_lo, 0, v20, vcc_lo
	v_med3_i32 v9, v9, 0, 13
	v_cmp_ne_u32_e32 vcc_lo, 0, v16
	v_mul_f16_sdwa v23, v72, v10 dst_sel:DWORD dst_unused:UNUSED_PAD src0_sel:WORD_1 src1_sel:DWORD
	v_and_or_b32 v0, 0x8000, v8, v0
	v_bfe_u32 v28, v19, 20, 11
	v_lshrrev_b32_e32 v26, v9, v22
	v_cndmask_b32_e64 v16, 0, 1, vcc_lo
	v_cmp_gt_i32_e32 vcc_lo, 31, v21
	v_fmac_f16_e32 v23, v72, v5
	v_add_nc_u32_e32 v25, 0xfffffc10, v25
	v_lshlrev_b32_e32 v27, v9, v26
	v_lshl_or_b32 v16, v16, 9, 0x7c00
	v_cndmask_b32_e32 v20, 0x7c00, v20, vcc_lo
	v_cmp_ne_u32_e32 vcc_lo, 0, v18
	v_cvt_f32_f16_e32 v23, v23
	v_mul_f16_sdwa v5, v72, v5 dst_sel:DWORD dst_unused:UNUSED_PAD src0_sel:WORD_1 src1_sel:DWORD
	v_and_b32_e32 v0, 0xffff, v0
	v_cndmask_b32_e64 v18, 0, 1, vcc_lo
	v_cmp_ne_u32_e32 vcc_lo, v27, v22
	v_cvt_f64_f32_e32 v[8:9], v23
	v_lshrrev_b32_e32 v23, 8, v19
	v_fma_f16 v5, v72, v10, -v5
	v_cndmask_b32_e64 v22, 0, 1, vcc_lo
	v_cmp_eq_u32_e32 vcc_lo, 0x40f, v21
	v_and_or_b32 v18, 0xffe, v23, v18
	v_sub_nc_u32_e32 v23, 0x3f1, v28
	v_lshl_or_b32 v21, v25, 12, v24
	v_cndmask_b32_e32 v27, v20, v16, vcc_lo
	v_add_co_u32 v16, vcc_lo, v14, s5
	v_or_b32_e32 v20, v26, v22
	v_lshrrev_b32_e32 v26, 16, v17
	v_add_co_ci_u32_e32 v17, vcc_lo, s4, v15, vcc_lo
	v_cmp_gt_i32_e32 vcc_lo, 1, v25
	v_or_b32_e32 v22, 0x1000, v18
	v_med3_i32 v23, v23, 0, 13
	global_store_dword v[14:15], v12, off
	global_store_dword v[16:17], v4, off
	v_cvt_f32_f16_e32 v4, v5
	v_cndmask_b32_e32 v30, v21, v20, vcc_lo
	v_mul_f64 v[20:21], v[8:9], s[2:3]
	v_lshrrev_b32_e32 v29, v23, v22
	v_and_or_b32 v8, 0x8000, v26, v27
	v_cvt_f64_f32_e32 v[4:5], v4
	v_and_b32_e32 v9, 7, v30
	v_lshrrev_b32_e32 v27, 16, v11
	v_lshlrev_b32_e32 v23, v23, v29
	v_lshl_or_b32 v0, v8, 16, v0
	v_cmp_lt_i32_e32 vcc_lo, 5, v9
	v_cmp_eq_u32_e64 s0, 3, v9
	v_lshrrev_b32_e32 v9, 2, v30
	v_cmp_ne_u32_e64 s1, v23, v22
	v_add_nc_u32_e32 v22, 0xfffffc10, v28
	s_or_b32 vcc_lo, s0, vcc_lo
	v_add_co_ci_u32_e32 v12, vcc_lo, 0, v9, vcc_lo
	v_cndmask_b32_e64 v10, 0, 1, s1
	v_cmp_ne_u32_e32 vcc_lo, 0, v24
	v_lshl_or_b32 v15, v22, 12, v18
	v_and_or_b32 v20, 0x1ff, v21, v20
	v_or_b32_e32 v14, v29, v10
	v_cndmask_b32_e64 v23, 0, 1, vcc_lo
	v_cmp_gt_i32_e32 vcc_lo, 1, v22
	ds_read2_b32 v[9:10], v74 offset0:32 offset1:232
	v_cndmask_b32_e32 v24, v15, v14, vcc_lo
	v_cmp_gt_i32_e32 vcc_lo, 31, v25
	v_lshrrev_b32_e32 v15, 8, v21
	v_cndmask_b32_e32 v8, 0x7c00, v12, vcc_lo
	v_cmp_ne_u32_e32 vcc_lo, 0, v20
	v_lshl_or_b32 v12, v23, 9, 0x7c00
	v_and_b32_e32 v20, 7, v24
	v_bfe_u32 v23, v21, 20, 11
	v_lshrrev_b32_e32 v21, 16, v21
	v_cndmask_b32_e64 v14, 0, 1, vcc_lo
	v_cmp_eq_u32_e32 vcc_lo, 0x40f, v25
	v_cmp_eq_u32_e64 s0, 3, v20
	s_waitcnt lgkmcnt(0)
	v_lshrrev_b32_e32 v26, 16, v9
	v_and_or_b32 v25, 0xffe, v15, v14
	v_cndmask_b32_e32 v8, v8, v12, vcc_lo
	v_cmp_lt_i32_e32 vcc_lo, 5, v20
	v_mul_f64 v[14:15], v[4:5], s[2:3]
	v_sub_nc_u32_e32 v4, 0x3f1, v23
	v_lshrrev_b32_e32 v5, 2, v24
	v_or_b32_e32 v20, 0x1000, v25
	s_or_b32 vcc_lo, s0, vcc_lo
	v_mul_f16_sdwa v12, v71, v26 dst_sel:DWORD dst_unused:UNUSED_PAD src0_sel:WORD_1 src1_sel:DWORD
	v_med3_i32 v4, v4, 0, 13
	v_add_co_ci_u32_e32 v5, vcc_lo, 0, v5, vcc_lo
	v_cmp_ne_u32_e32 vcc_lo, 0, v18
	v_fmac_f16_e32 v12, v71, v9
	v_lshrrev_b32_e32 v24, v4, v20
	v_and_or_b32 v8, 0x8000, v27, v8
	v_mul_f16_sdwa v9, v71, v9 dst_sel:DWORD dst_unused:UNUSED_PAD src0_sel:WORD_1 src1_sel:DWORD
	v_cndmask_b32_e64 v18, 0, 1, vcc_lo
	v_cmp_gt_i32_e32 vcc_lo, 31, v22
	v_lshlrev_b32_e32 v28, v4, v24
	v_cvt_f32_f16_e32 v4, v12
	v_and_b32_e32 v8, 0xffff, v8
	v_lshl_or_b32 v18, v18, 9, 0x7c00
	v_cndmask_b32_e32 v29, 0x7c00, v5, vcc_lo
	v_add_co_u32 v11, vcc_lo, v16, s5
	v_add_co_ci_u32_e32 v12, vcc_lo, s4, v17, vcc_lo
	v_cmp_ne_u32_e32 vcc_lo, v28, v20
	v_and_or_b32 v14, 0x1ff, v15, v14
	v_cvt_f64_f32_e32 v[4:5], v4
	v_add_nc_u32_e32 v20, 0xfffffc10, v23
	global_store_dword v[11:12], v0, off
	v_cndmask_b32_e64 v16, 0, 1, vcc_lo
	v_cmp_eq_u32_e32 vcc_lo, 0x40f, v22
	v_bfe_u32 v22, v15, 20, 11
	v_lshl_or_b32 v23, v20, 12, v25
	v_add_co_u32 v11, s1, v11, s5
	v_cndmask_b32_e32 v17, v29, v18, vcc_lo
	v_cmp_ne_u32_e32 vcc_lo, 0, v14
	v_lshrrev_b32_e32 v18, 16, v19
	v_lshrrev_b32_e32 v19, 8, v15
	v_or_b32_e32 v16, v24, v16
	v_add_co_ci_u32_e64 v12, s1, s4, v12, s1
	v_cndmask_b32_e64 v14, 0, 1, vcc_lo
	v_cmp_gt_i32_e32 vcc_lo, 1, v20
	v_and_or_b32 v18, 0x8000, v18, v17
	v_sub_nc_u32_e32 v17, 0x3f1, v22
	v_add_nc_u32_e32 v22, 0xfffffc10, v22
	v_and_or_b32 v14, 0xffe, v19, v14
	v_cndmask_b32_e32 v19, v23, v16, vcc_lo
	v_med3_i32 v24, v17, 0, 13
	v_mul_f64 v[16:17], v[4:5], s[2:3]
	v_or_b32_e32 v23, 0x1000, v14
	v_and_b32_e32 v4, 7, v19
	v_lshrrev_b32_e32 v19, 2, v19
	v_fma_f16 v5, v71, v26, -v9
	v_lshl_or_b32 v26, v18, 16, v8
	v_lshrrev_b32_e32 v0, v24, v23
	v_cmp_lt_i32_e32 vcc_lo, 5, v4
	v_cmp_eq_u32_e64 s0, 3, v4
	v_cvt_f32_f16_e32 v8, v5
	ds_read2_b32 v[4:5], v73 offset0:48 offset1:248
	v_lshlrev_b32_e32 v18, v24, v0
	global_store_dword v[11:12], v26, off
	s_or_b32 vcc_lo, s0, vcc_lo
	v_cvt_f64_f32_e32 v[8:9], v8
	v_add_co_ci_u32_e32 v19, vcc_lo, 0, v19, vcc_lo
	v_cmp_ne_u32_e32 vcc_lo, v18, v23
	v_cndmask_b32_e64 v18, 0, 1, vcc_lo
	v_cmp_ne_u32_e32 vcc_lo, 0, v25
	v_and_or_b32 v16, 0x1ff, v17, v16
	v_bfe_u32 v25, v17, 20, 11
	v_or_b32_e32 v0, v0, v18
	v_cndmask_b32_e64 v23, 0, 1, vcc_lo
	v_cmp_gt_i32_e32 vcc_lo, 31, v20
	v_lshl_or_b32 v18, v22, 12, v14
	s_waitcnt lgkmcnt(0)
	v_lshrrev_b32_e32 v27, 16, v4
	v_lshl_or_b32 v23, v23, 9, 0x7c00
	v_cndmask_b32_e32 v24, 0x7c00, v19, vcc_lo
	v_cmp_ne_u32_e32 vcc_lo, 0, v16
	v_lshrrev_b32_e32 v19, 8, v17
	v_lshrrev_b32_e32 v17, 16, v17
	v_cndmask_b32_e64 v16, 0, 1, vcc_lo
	v_cmp_gt_i32_e32 vcc_lo, 1, v22
	v_and_or_b32 v16, 0xffe, v19, v16
	v_cndmask_b32_e32 v0, v18, v0, vcc_lo
	v_mul_f64 v[18:19], v[8:9], s[2:3]
	v_sub_nc_u32_e32 v8, 0x3f1, v25
	v_cmp_eq_u32_e32 vcc_lo, 0x40f, v20
	v_or_b32_e32 v29, 0x1000, v16
	v_and_b32_e32 v28, 7, v0
	v_mul_f16_sdwa v9, v68, v27 dst_sel:DWORD dst_unused:UNUSED_PAD src0_sel:WORD_1 src1_sel:DWORD
	v_med3_i32 v8, v8, 0, 13
	v_cndmask_b32_e32 v20, v24, v23, vcc_lo
	v_lshrrev_b32_e32 v0, 2, v0
	v_cmp_lt_i32_e32 vcc_lo, 5, v28
	v_cmp_eq_u32_e64 s0, 3, v28
	v_lshrrev_b32_e32 v23, v8, v29
	v_fmac_f16_e32 v9, v68, v4
	v_and_or_b32 v20, 0x8000, v21, v20
	v_mul_f16_sdwa v4, v68, v4 dst_sel:DWORD dst_unused:UNUSED_PAD src0_sel:WORD_1 src1_sel:DWORD
	s_or_b32 vcc_lo, s0, vcc_lo
	v_lshlrev_b32_e32 v24, v8, v23
	v_add_co_ci_u32_e32 v0, vcc_lo, 0, v0, vcc_lo
	v_cmp_ne_u32_e32 vcc_lo, 0, v14
	v_cvt_f32_f16_e32 v9, v9
	v_fma_f16 v4, v68, v27, -v4
	v_and_or_b32 v18, 0x1ff, v19, v18
	v_bfe_u32 v28, v19, 20, 11
	v_cndmask_b32_e64 v14, 0, 1, vcc_lo
	v_cmp_ne_u32_e32 vcc_lo, v24, v29
	v_cvt_f64_f32_e32 v[8:9], v9
	v_add_nc_u32_e32 v24, 0xfffffc10, v25
	v_lshrrev_b32_e32 v25, 8, v19
	v_lshl_or_b32 v14, v14, 9, 0x7c00
	v_cndmask_b32_e64 v21, 0, 1, vcc_lo
	v_cmp_gt_i32_e32 vcc_lo, 31, v22
	v_cvt_f32_f16_e32 v4, v4
	v_add_nc_u32_e32 v27, 0xfffffc10, v28
	v_cmp_eq_u32_e64 s1, 0x40f, v24
	v_or_b32_e32 v21, v23, v21
	v_cndmask_b32_e32 v0, 0x7c00, v0, vcc_lo
	v_cmp_ne_u32_e32 vcc_lo, 0, v18
	v_lshl_or_b32 v23, v24, 12, v16
	v_lshrrev_b32_e32 v19, 16, v19
	v_cndmask_b32_e64 v18, 0, 1, vcc_lo
	v_cmp_eq_u32_e32 vcc_lo, 0x40f, v22
	v_lshrrev_b32_e32 v22, 16, v15
	v_and_or_b32 v18, 0xffe, v25, v18
	v_cndmask_b32_e32 v0, v0, v14, vcc_lo
	v_cmp_gt_i32_e32 vcc_lo, 1, v24
	v_mul_f64 v[14:15], v[8:9], s[2:3]
	v_sub_nc_u32_e32 v8, 0x3f1, v28
	v_and_or_b32 v0, 0x8000, v22, v0
	v_cndmask_b32_e32 v23, v23, v21, vcc_lo
	v_or_b32_e32 v22, 0x1000, v18
	v_med3_i32 v25, v8, 0, 13
	v_and_b32_e32 v8, 0xffff, v20
	v_cvt_f64_f32_e32 v[20:21], v4
	v_and_b32_e32 v9, 7, v23
	v_lshrrev_b32_e32 v4, 2, v23
	v_lshrrev_b32_e32 v26, v25, v22
	v_lshl_or_b32 v0, v0, 16, v8
	v_cmp_lt_i32_e32 vcc_lo, 5, v9
	v_cmp_eq_u32_e64 s0, 3, v9
	v_lshlrev_b32_e32 v23, v25, v26
	ds_read2_b32 v[8:9], v70 offset1:200
	s_or_b32 vcc_lo, s0, vcc_lo
	v_add_co_ci_u32_e32 v4, vcc_lo, 0, v4, vcc_lo
	v_cmp_ne_u32_e32 vcc_lo, v23, v22
	v_and_or_b32 v14, 0x1ff, v15, v14
	v_cndmask_b32_e64 v25, 0, 1, vcc_lo
	v_add_co_u32 v22, vcc_lo, v11, s5
	v_add_co_ci_u32_e32 v23, vcc_lo, s4, v12, vcc_lo
	v_cmp_ne_u32_e32 vcc_lo, 0, v14
	v_or_b32_e32 v11, v26, v25
	v_lshl_or_b32 v12, v27, 12, v18
	v_lshrrev_b32_e32 v25, 8, v15
	v_bfe_u32 v26, v15, 20, 11
	v_cndmask_b32_e64 v14, 0, 1, vcc_lo
	v_cmp_gt_i32_e32 vcc_lo, 1, v27
	s_waitcnt lgkmcnt(0)
	v_lshrrev_b32_e32 v28, 16, v8
	v_mul_f64 v[20:21], v[20:21], s[2:3]
	v_lshrrev_b32_e32 v15, 16, v15
	v_and_or_b32 v14, 0xffe, v25, v14
	v_cndmask_b32_e32 v11, v12, v11, vcc_lo
	v_cmp_ne_u32_e32 vcc_lo, 0, v16
	v_sub_nc_u32_e32 v12, 0x3f1, v26
	v_mul_f16_sdwa v25, v67, v28 dst_sel:DWORD dst_unused:UNUSED_PAD src0_sel:WORD_1 src1_sel:DWORD
	v_or_b32_e32 v30, 0x1000, v14
	v_and_b32_e32 v29, 7, v11
	v_cndmask_b32_e64 v16, 0, 1, vcc_lo
	v_cmp_gt_i32_e32 vcc_lo, 31, v24
	v_med3_i32 v12, v12, 0, 13
	v_fmac_f16_e32 v25, v67, v8
	v_cmp_eq_u32_e64 s0, 3, v29
	v_lshl_or_b32 v16, v16, 9, 0x7c00
	v_cndmask_b32_e32 v4, 0x7c00, v4, vcc_lo
	v_cmp_lt_i32_e32 vcc_lo, 5, v29
	v_lshrrev_b32_e32 v31, v12, v30
	v_cvt_f32_f16_e32 v25, v25
	v_add_nc_u32_e32 v26, 0xfffffc10, v26
	v_cndmask_b32_e64 v4, v4, v16, s1
	v_lshrrev_b32_e32 v16, 2, v11
	s_or_b32 vcc_lo, s0, vcc_lo
	v_lshlrev_b32_e32 v24, v12, v31
	v_cvt_f64_f32_e32 v[11:12], v25
	v_and_or_b32 v20, 0x1ff, v21, v20
	v_add_co_ci_u32_e32 v16, vcc_lo, 0, v16, vcc_lo
	v_cmp_ne_u32_e32 vcc_lo, 0, v18
	v_lshrrev_b32_e32 v25, 8, v21
	v_bfe_u32 v29, v21, 20, 11
	v_mul_f16_sdwa v8, v67, v8 dst_sel:DWORD dst_unused:UNUSED_PAD src0_sel:WORD_1 src1_sel:DWORD
	v_lshl_or_b32 v32, v26, 12, v14
	v_cndmask_b32_e64 v18, 0, 1, vcc_lo
	v_cmp_ne_u32_e32 vcc_lo, v24, v30
	v_and_or_b32 v4, 0x8000, v17, v4
	v_fma_f16 v8, v67, v28, -v8
	v_lshl_or_b32 v18, v18, 9, 0x7c00
	v_cndmask_b32_e64 v24, 0, 1, vcc_lo
	v_cmp_ne_u32_e32 vcc_lo, 0, v20
	v_cvt_f32_f16_e32 v8, v8
	v_and_b32_e32 v4, 0xffff, v4
	v_or_b32_e32 v30, v31, v24
	v_cndmask_b32_e64 v20, 0, 1, vcc_lo
	v_cmp_gt_i32_e32 vcc_lo, 31, v27
	v_sub_nc_u32_e32 v31, 0x3f1, v29
	v_and_or_b32 v20, 0xffe, v25, v20
	v_cndmask_b32_e32 v16, 0x7c00, v16, vcc_lo
	v_mul_f64 v[24:25], v[11:12], s[2:3]
	v_med3_i32 v12, v31, 0, 13
	v_cmp_eq_u32_e32 vcc_lo, 0x40f, v27
	v_or_b32_e32 v11, 0x1000, v20
	v_cndmask_b32_e32 v18, v16, v18, vcc_lo
	v_cmp_gt_i32_e32 vcc_lo, 1, v26
	v_lshrrev_b32_e32 v28, v12, v11
	v_cvt_f64_f32_e32 v[16:17], v8
	v_and_or_b32 v8, 0x8000, v19, v18
	v_cndmask_b32_e32 v27, v32, v30, vcc_lo
	v_lshlrev_b32_e32 v12, v12, v28
	v_add_nc_u32_e32 v18, 0xfffffc10, v29
	v_lshl_or_b32 v4, v8, 16, v4
	v_and_b32_e32 v30, 7, v27
	v_cmp_ne_u32_e64 s0, v12, v11
	v_lshrrev_b32_e32 v12, 2, v27
	v_lshl_or_b32 v27, v18, 12, v20
	v_and_or_b32 v19, 0x1ff, v25, v24
	v_cmp_lt_i32_e32 vcc_lo, 5, v30
	v_cndmask_b32_e64 v11, 0, 1, s0
	v_cmp_eq_u32_e64 s0, 3, v30
	v_lshrrev_b32_e32 v29, 8, v25
	v_bfe_u32 v30, v25, 20, 11
	v_cmp_eq_u32_e64 s1, 0x40f, v18
	v_or_b32_e32 v24, v28, v11
	s_or_b32 vcc_lo, s0, vcc_lo
	v_lshrrev_b32_e32 v25, 16, v25
	v_add_co_ci_u32_e32 v28, vcc_lo, 0, v12, vcc_lo
	v_cmp_ne_u32_e32 vcc_lo, 0, v14
	ds_read2_b32 v[11:12], v69 offset0:16 offset1:216
	v_mul_f64 v[16:17], v[16:17], s[2:3]
	v_cndmask_b32_e64 v14, 0, 1, vcc_lo
	v_cmp_ne_u32_e32 vcc_lo, 0, v19
	v_lshl_or_b32 v14, v14, 9, 0x7c00
	v_cndmask_b32_e64 v19, 0, 1, vcc_lo
	v_cmp_gt_i32_e32 vcc_lo, 1, v18
	v_cndmask_b32_e32 v24, v27, v24, vcc_lo
	v_and_or_b32 v27, 0xffe, v29, v19
	v_sub_nc_u32_e32 v19, 0x3f1, v30
	v_cmp_gt_i32_e32 vcc_lo, 31, v26
	v_and_b32_e32 v31, 7, v24
	v_or_b32_e32 v29, 0x1000, v27
	v_med3_i32 v19, v19, 0, 13
	v_cndmask_b32_e32 v28, 0x7c00, v28, vcc_lo
	v_cmp_eq_u32_e32 vcc_lo, 0x40f, v26
	v_cmp_eq_u32_e64 s0, 3, v31
	s_waitcnt lgkmcnt(0)
	v_lshrrev_b32_e32 v26, 16, v11
	v_lshrrev_b32_e32 v24, 2, v24
	v_cndmask_b32_e32 v8, v28, v14, vcc_lo
	v_lshrrev_b32_e32 v14, v19, v29
	v_cmp_lt_i32_e32 vcc_lo, 5, v31
	v_mul_f16_sdwa v28, v66, v26 dst_sel:DWORD dst_unused:UNUSED_PAD src0_sel:WORD_1 src1_sel:DWORD
	v_bfe_u32 v31, v17, 20, 11
	v_and_or_b32 v8, 0x8000, v15, v8
	v_lshlrev_b32_e32 v19, v19, v14
	s_or_b32 vcc_lo, s0, vcc_lo
	v_and_or_b32 v15, 0x1ff, v17, v16
	v_add_co_ci_u32_e32 v16, vcc_lo, 0, v24, vcc_lo
	v_cmp_ne_u32_e32 vcc_lo, v19, v29
	v_fmac_f16_e32 v28, v66, v11
	v_add_nc_u32_e32 v24, 0xfffffc10, v30
	v_lshrrev_b32_e32 v30, 8, v17
	v_mul_f16_sdwa v11, v66, v11 dst_sel:DWORD dst_unused:UNUSED_PAD src0_sel:WORD_1 src1_sel:DWORD
	v_cndmask_b32_e64 v19, 0, 1, vcc_lo
	v_cmp_ne_u32_e32 vcc_lo, 0, v15
	v_cvt_f32_f16_e32 v28, v28
	v_lshl_or_b32 v32, v24, 12, v27
	v_fma_f16 v11, v66, v26, -v11
	v_or_b32_e32 v19, v14, v19
	v_cndmask_b32_e64 v29, 0, 1, vcc_lo
	v_cmp_gt_i32_e32 vcc_lo, 1, v24
	v_cvt_f64_f32_e32 v[14:15], v28
	v_cvt_f32_f16_e32 v11, v11
	v_and_b32_e32 v8, 0xffff, v8
	v_and_or_b32 v28, 0xffe, v30, v29
	v_sub_nc_u32_e32 v29, 0x3f1, v31
	v_cndmask_b32_e32 v19, v32, v19, vcc_lo
	v_cmp_ne_u32_e32 vcc_lo, 0, v20
	v_lshrrev_b32_e32 v17, 16, v17
	v_or_b32_e32 v30, 0x1000, v28
	v_med3_i32 v29, v29, 0, 13
	v_and_b32_e32 v32, 7, v19
	v_cndmask_b32_e64 v20, 0, 1, vcc_lo
	v_cmp_gt_i32_e32 vcc_lo, 31, v18
	v_lshrrev_b32_e32 v18, 2, v19
	v_lshrrev_b32_e32 v33, v29, v30
	v_cmp_eq_u32_e64 s0, 3, v32
	v_lshl_or_b32 v20, v20, 9, 0x7c00
	v_cndmask_b32_e32 v16, 0x7c00, v16, vcc_lo
	v_cmp_lt_i32_e32 vcc_lo, 5, v32
	v_mul_f16_sdwa v32, v64, v7 dst_sel:DWORD dst_unused:UNUSED_PAD src0_sel:WORD_1 src1_sel:DWORD
	v_cndmask_b32_e64 v16, v16, v20, s1
	v_lshlrev_b32_e32 v20, v29, v33
	s_or_b32 vcc_lo, s0, vcc_lo
	v_mul_f64 v[14:15], v[14:15], s[2:3]
	v_add_co_ci_u32_e32 v26, vcc_lo, 0, v18, vcc_lo
	v_cmp_ne_u32_e32 vcc_lo, v20, v30
	v_cvt_f64_f32_e32 v[18:19], v11
	v_add_nc_u32_e32 v29, 0xfffffc10, v31
	v_cndmask_b32_e64 v11, 0, 1, vcc_lo
	v_cmp_ne_u32_e32 vcc_lo, 0, v27
	v_lshrrev_b32_e32 v27, 16, v21
	v_lshl_or_b32 v30, v29, 12, v28
	v_or_b32_e32 v11, v33, v11
	v_cndmask_b32_e64 v20, 0, 1, vcc_lo
	v_cmp_gt_i32_e32 vcc_lo, 31, v24
	v_and_or_b32 v16, 0x8000, v27, v16
	v_lshl_or_b32 v31, v20, 9, 0x7c00
	v_cndmask_b32_e32 v26, 0x7c00, v26, vcc_lo
	v_add_co_u32 v20, vcc_lo, v22, s5
	v_add_co_ci_u32_e32 v21, vcc_lo, s4, v23, vcc_lo
	v_cmp_gt_i32_e32 vcc_lo, 1, v29
	v_and_or_b32 v14, 0x1ff, v15, v14
	v_mul_f64 v[18:19], v[18:19], s[2:3]
	global_store_dword v[22:23], v0, off
	global_store_dword v[20:21], v4, off
	v_lshl_or_b32 v0, v16, 16, v8
	v_cndmask_b32_e32 v11, v30, v11, vcc_lo
	v_cmp_eq_u32_e32 vcc_lo, 0x40f, v24
	v_cmp_ne_u32_e64 s0, 0, v14
	v_lshrrev_b32_e32 v4, 16, v13
	v_lshrrev_b32_e32 v14, 8, v15
	v_bfe_u32 v16, v15, 20, 11
	v_cndmask_b32_e32 v24, v26, v31, vcc_lo
	v_and_b32_e32 v26, 7, v11
	v_cndmask_b32_e64 v8, 0, 1, s0
	v_lshrrev_b32_e32 v11, 2, v11
	v_mul_f16_sdwa v22, v65, v4 dst_sel:DWORD dst_unused:UNUSED_PAD src0_sel:WORD_1 src1_sel:DWORD
	v_and_or_b32 v24, 0x8000, v25, v24
	v_cmp_lt_i32_e32 vcc_lo, 5, v26
	v_cmp_eq_u32_e64 s0, 3, v26
	v_and_or_b32 v8, 0xffe, v14, v8
	v_sub_nc_u32_e32 v14, 0x3f1, v16
	v_fmac_f16_e32 v22, v65, v13
	v_lshrrev_b32_e32 v15, 16, v15
	s_or_b32 vcc_lo, s0, vcc_lo
	v_or_b32_e32 v26, 0x1000, v8
	v_add_co_ci_u32_e32 v11, vcc_lo, 0, v11, vcc_lo
	v_cmp_ne_u32_e32 vcc_lo, 0, v28
	v_med3_i32 v14, v14, 0, 13
	v_and_or_b32 v18, 0x1ff, v19, v18
	v_cvt_f32_f16_e32 v22, v22
	v_lshrrev_b32_e32 v30, 8, v19
	v_cndmask_b32_e64 v27, 0, 1, vcc_lo
	v_cmp_gt_i32_e32 vcc_lo, 31, v29
	v_lshrrev_b32_e32 v28, v14, v26
	v_cvt_f64_f32_e32 v[22:23], v22
	v_bfe_u32 v31, v19, 20, 11
	v_lshl_or_b32 v27, v27, 9, 0x7c00
	v_cndmask_b32_e32 v11, 0x7c00, v11, vcc_lo
	v_cmp_ne_u32_e32 vcc_lo, 0, v18
	v_lshlrev_b32_e32 v14, v14, v28
	v_sub_nc_u32_e32 v25, 0x3f1, v31
	v_cndmask_b32_e64 v18, 0, 1, vcc_lo
	v_cmp_eq_u32_e32 vcc_lo, 0x40f, v29
	v_mul_f16_sdwa v29, v65, v13 dst_sel:DWORD dst_unused:UNUSED_PAD src0_sel:WORD_1 src1_sel:DWORD
	v_and_or_b32 v18, 0xffe, v30, v18
	v_cndmask_b32_e32 v11, v11, v27, vcc_lo
	v_cmp_ne_u32_e32 vcc_lo, v14, v26
	v_add_nc_u32_e32 v26, 0xfffffc10, v16
	v_med3_i32 v16, v25, 0, 13
	v_or_b32_e32 v27, 0x1000, v18
	v_fma_f16 v4, v65, v4, -v29
	v_cndmask_b32_e64 v14, 0, 1, vcc_lo
	v_cmp_gt_i32_e32 vcc_lo, 1, v26
	v_and_or_b32 v11, 0x8000, v17, v11
	v_lshrrev_b32_e32 v30, v16, v27
	v_cvt_f32_f16_e32 v4, v4
	v_or_b32_e32 v25, v28, v14
	v_lshl_or_b32 v28, v26, 12, v8
	v_mul_f64 v[13:14], v[22:23], s[2:3]
	v_and_b32_e32 v23, 0xffff, v24
	v_lshlrev_b32_e32 v24, v16, v30
	v_cndmask_b32_e32 v22, v28, v25, vcc_lo
	v_add_co_u32 v16, vcc_lo, v20, s5
	v_add_co_ci_u32_e32 v17, vcc_lo, s4, v21, vcc_lo
	v_and_b32_e32 v25, 7, v22
	v_cmp_ne_u32_e32 vcc_lo, v24, v27
	v_cvt_f64_f32_e32 v[20:21], v4
	v_lshrrev_b32_e32 v22, 2, v22
	v_add_nc_u32_e32 v24, 0xfffffc10, v31
	v_cmp_eq_u32_e64 s0, 3, v25
	v_cndmask_b32_e64 v4, 0, 1, vcc_lo
	v_cmp_lt_i32_e32 vcc_lo, 5, v25
	v_lshl_or_b32 v11, v11, 16, v23
	v_lshl_or_b32 v25, v24, 12, v18
	global_store_dword v[16:17], v0, off
	v_or_b32_e32 v4, v30, v4
	s_or_b32 vcc_lo, s0, vcc_lo
	v_and_or_b32 v13, 0x1ff, v14, v13
	v_add_co_ci_u32_e32 v22, vcc_lo, 0, v22, vcc_lo
	v_cmp_ne_u32_e32 vcc_lo, 0, v8
	v_lshrrev_b32_e32 v23, 8, v14
	v_cndmask_b32_e64 v8, 0, 1, vcc_lo
	v_cmp_gt_i32_e32 vcc_lo, 1, v24
	v_mul_f64 v[20:21], v[20:21], s[2:3]
	v_lshl_or_b32 v8, v8, 9, 0x7c00
	v_cndmask_b32_e32 v4, v25, v4, vcc_lo
	v_cmp_ne_u32_e32 vcc_lo, 0, v13
	v_bfe_u32 v25, v14, 20, 11
	v_lshrrev_b32_e32 v14, 16, v14
	v_and_b32_e32 v27, 7, v4
	v_cndmask_b32_e64 v13, 0, 1, vcc_lo
	v_cmp_gt_i32_e32 vcc_lo, 31, v26
	v_lshrrev_b32_e32 v4, 2, v4
	v_cmp_eq_u32_e64 s0, 3, v27
	v_and_or_b32 v13, 0xffe, v23, v13
	v_cndmask_b32_e32 v22, 0x7c00, v22, vcc_lo
	v_cmp_eq_u32_e32 vcc_lo, 0x40f, v26
	v_sub_nc_u32_e32 v23, 0x3f1, v25
	v_lshrrev_b32_e32 v26, 16, v7
	v_add_nc_u32_e32 v25, 0xfffffc10, v25
	v_cndmask_b32_e32 v8, v22, v8, vcc_lo
	v_cmp_lt_i32_e32 vcc_lo, 5, v27
	v_or_b32_e32 v22, 0x1000, v13
	v_med3_i32 v23, v23, 0, 13
	v_mul_f16_sdwa v27, v64, v26 dst_sel:DWORD dst_unused:UNUSED_PAD src0_sel:WORD_1 src1_sel:DWORD
	v_and_or_b32 v20, 0x1ff, v21, v20
	s_or_b32 vcc_lo, s0, vcc_lo
	v_bfe_u32 v30, v21, 20, 11
	v_add_co_ci_u32_e32 v4, vcc_lo, 0, v4, vcc_lo
	v_lshrrev_b32_e32 v28, v23, v22
	v_cmp_ne_u32_e32 vcc_lo, 0, v18
	v_fmac_f16_e32 v27, v64, v7
	v_and_or_b32 v15, 0x8000, v15, v8
	v_lshlrev_b32_e32 v23, v23, v28
	v_cndmask_b32_e64 v18, 0, 1, vcc_lo
	v_cmp_gt_i32_e32 vcc_lo, 31, v24
	v_cvt_f32_f16_e32 v27, v27
	v_lshl_or_b32 v18, v18, 9, 0x7c00
	v_cndmask_b32_e32 v4, 0x7c00, v4, vcc_lo
	v_cmp_ne_u32_e32 vcc_lo, v23, v22
	v_cvt_f64_f32_e32 v[22:23], v27
	v_lshrrev_b32_e32 v27, 8, v21
	v_cndmask_b32_e64 v29, 0, 1, vcc_lo
	v_cmp_ne_u32_e32 vcc_lo, 0, v20
	v_or_b32_e32 v28, v28, v29
	v_cndmask_b32_e64 v20, 0, 1, vcc_lo
	v_cmp_eq_u32_e32 vcc_lo, 0x40f, v24
	v_lshl_or_b32 v29, v25, 12, v13
	v_lshrrev_b32_e32 v24, 16, v19
	v_and_or_b32 v20, 0xffe, v27, v20
	v_cndmask_b32_e32 v4, v4, v18, vcc_lo
	v_cmp_gt_i32_e32 vcc_lo, 1, v25
	v_sub_nc_u32_e32 v27, 0x3f1, v30
	v_or_b32_e32 v31, 0x1000, v20
	v_and_or_b32 v4, 0x8000, v24, v4
	v_cndmask_b32_e32 v28, v29, v28, vcc_lo
	v_med3_i32 v27, v27, 0, 13
	v_mul_f64 v[7:8], v[22:23], s[2:3]
	v_add_co_u32 v18, vcc_lo, v16, s5
	v_and_b32_e32 v22, 7, v28
	v_fma_f16 v24, v64, v26, -v32
	v_lshrrev_b32_e32 v29, v27, v31
	v_add_co_ci_u32_e32 v19, vcc_lo, s4, v17, vcc_lo
	v_cmp_lt_i32_e32 vcc_lo, 5, v22
	v_cmp_eq_u32_e64 s0, 3, v22
	v_cvt_f32_f16_e32 v0, v24
	v_lshrrev_b32_e32 v17, 2, v28
	v_lshlrev_b32_e32 v23, v27, v29
	v_and_b32_e32 v26, 0xffff, v15
	s_or_b32 vcc_lo, s0, vcc_lo
	v_cvt_f64_f32_e32 v[15:16], v0
	v_add_co_ci_u32_e32 v0, vcc_lo, 0, v17, vcc_lo
	v_cmp_ne_u32_e64 s1, v23, v31
	v_cmp_ne_u32_e32 vcc_lo, 0, v13
	v_add_nc_u32_e32 v24, 0xfffffc10, v30
	global_store_dword v[18:19], v11, off
	v_and_or_b32 v7, 0x1ff, v8, v7
	v_cndmask_b32_e64 v22, 0, 1, s1
	v_cndmask_b32_e64 v13, 0, 1, vcc_lo
	v_cmp_gt_i32_e32 vcc_lo, 31, v25
	v_lshl_or_b32 v11, v4, 16, v26
	v_bfe_u32 v26, v8, 20, 11
	v_or_b32_e32 v17, v29, v22
	v_lshl_or_b32 v22, v24, 12, v20
	v_cndmask_b32_e32 v0, 0x7c00, v0, vcc_lo
	v_cmp_gt_i32_e32 vcc_lo, 1, v24
	v_lshl_or_b32 v13, v13, 9, 0x7c00
	v_lshrrev_b32_e32 v30, 16, v2
	v_cndmask_b32_e32 v17, v22, v17, vcc_lo
	v_cmp_eq_u32_e32 vcc_lo, 0x40f, v25
	v_lshrrev_b32_e32 v25, 16, v3
	v_mul_f64 v[15:16], v[15:16], s[2:3]
	v_and_b32_e32 v4, 7, v17
	v_cndmask_b32_e32 v0, v0, v13, vcc_lo
	v_cmp_ne_u32_e32 vcc_lo, 0, v7
	v_lshrrev_b32_e32 v13, 8, v8
	v_mul_f16_sdwa v22, v63, v25 dst_sel:DWORD dst_unused:UNUSED_PAD src0_sel:WORD_1 src1_sel:DWORD
	v_cmp_eq_u32_e64 s0, 3, v4
	v_and_or_b32 v0, 0x8000, v14, v0
	v_cndmask_b32_e64 v7, 0, 1, vcc_lo
	v_cmp_lt_i32_e32 vcc_lo, 5, v4
	v_lshrrev_b32_e32 v4, 2, v17
	v_fmac_f16_e32 v22, v63, v3
	v_mul_f16_sdwa v3, v63, v3 dst_sel:DWORD dst_unused:UNUSED_PAD src0_sel:WORD_1 src1_sel:DWORD
	v_and_or_b32 v7, 0xffe, v13, v7
	v_sub_nc_u32_e32 v13, 0x3f1, v26
	s_or_b32 vcc_lo, s0, vcc_lo
	v_cvt_f32_f16_e32 v22, v22
	v_add_co_ci_u32_e32 v4, vcc_lo, 0, v4, vcc_lo
	v_or_b32_e32 v17, 0x1000, v7
	v_med3_i32 v13, v13, 0, 13
	v_cmp_ne_u32_e32 vcc_lo, 0, v20
	v_cvt_f64_f32_e32 v[22:23], v22
	v_and_or_b32 v15, 0x1ff, v16, v15
	v_add_nc_u32_e32 v26, 0xfffffc10, v26
	v_lshrrev_b32_e32 v27, v13, v17
	v_cndmask_b32_e64 v20, 0, 1, vcc_lo
	v_cmp_gt_i32_e32 vcc_lo, 31, v24
	v_fma_f16 v3, v63, v25, -v3
	v_and_b32_e32 v0, 0xffff, v0
	v_lshlrev_b32_e32 v13, v13, v27
	v_lshl_or_b32 v20, v20, 9, 0x7c00
	v_cndmask_b32_e32 v4, 0x7c00, v4, vcc_lo
	v_cmp_eq_u32_e32 vcc_lo, 0x40f, v24
	v_bfe_u32 v24, v16, 20, 11
	v_lshrrev_b32_e32 v8, 16, v8
	v_cndmask_b32_e32 v4, v4, v20, vcc_lo
	v_cmp_ne_u32_e32 vcc_lo, v13, v17
	v_lshrrev_b32_e32 v17, 16, v21
	v_sub_nc_u32_e32 v21, 0x3f1, v24
	v_cndmask_b32_e64 v13, 0, 1, vcc_lo
	v_cmp_ne_u32_e32 vcc_lo, 0, v15
	v_lshrrev_b32_e32 v15, 8, v16
	v_med3_i32 v21, v21, 0, 13
	v_and_or_b32 v17, 0x8000, v17, v4
	v_or_b32_e32 v20, v27, v13
	v_cndmask_b32_e64 v14, 0, 1, vcc_lo
	v_lshl_or_b32 v27, v26, 12, v7
	v_cmp_gt_i32_e32 vcc_lo, 1, v26
	v_lshl_or_b32 v0, v17, 16, v0
	v_lshrrev_b32_e32 v16, 16, v16
	v_and_or_b32 v15, 0xffe, v15, v14
	v_mul_f64 v[13:14], v[22:23], s[2:3]
	v_cndmask_b32_e32 v23, v27, v20, vcc_lo
	v_cvt_f32_f16_e32 v27, v3
	v_add_co_u32 v3, vcc_lo, v18, s5
	v_or_b32_e32 v22, 0x1000, v15
	v_and_b32_e32 v20, 7, v23
	v_add_co_ci_u32_e32 v4, vcc_lo, s4, v19, vcc_lo
	v_cvt_f64_f32_e32 v[17:18], v27
	v_lshrrev_b32_e32 v25, v21, v22
	v_cmp_lt_i32_e32 vcc_lo, 5, v20
	v_cmp_eq_u32_e64 s0, 3, v20
	v_lshrrev_b32_e32 v23, 2, v23
	v_mad_u64_u32 v[19:20], null, 0xffffcae0, s8, v[3:4]
	v_lshlrev_b32_e32 v21, v21, v25
	s_or_b32 vcc_lo, s0, vcc_lo
	s_mul_i32 s0, s9, 0xffffcae0
	s_sub_i32 s6, s0, s8
	v_cmp_ne_u32_e64 s1, v21, v22
	v_and_or_b32 v13, 0x1ff, v14, v13
	v_add_co_ci_u32_e32 v22, vcc_lo, 0, v23, vcc_lo
	v_add_nc_u32_e32 v23, 0xfffffc10, v24
	v_cndmask_b32_e64 v21, 0, 1, s1
	v_cmp_ne_u32_e32 vcc_lo, 0, v13
	v_lshrrev_b32_e32 v24, 8, v14
	v_bfe_u32 v27, v14, 20, 11
	v_cmp_eq_u32_e64 s1, 0x40f, v23
	v_or_b32_e32 v21, v25, v21
	v_cndmask_b32_e64 v13, 0, 1, vcc_lo
	v_cmp_ne_u32_e32 vcc_lo, 0, v7
	v_lshl_or_b32 v25, v23, 12, v15
	v_mul_f64 v[17:18], v[17:18], s[2:3]
	v_add_nc_u32_e32 v20, s6, v20
	v_and_or_b32 v13, 0xffe, v24, v13
	v_cndmask_b32_e64 v7, 0, 1, vcc_lo
	v_cmp_gt_i32_e32 vcc_lo, 31, v26
	v_sub_nc_u32_e32 v24, 0x3f1, v27
	global_store_dword v[3:4], v11, off
	global_store_dword v[19:20], v0, off
	v_lshrrev_b32_e32 v0, 16, v1
	v_lshl_or_b32 v7, v7, 9, 0x7c00
	v_cndmask_b32_e32 v22, 0x7c00, v22, vcc_lo
	v_cmp_gt_i32_e32 vcc_lo, 1, v23
	v_med3_i32 v24, v24, 0, 13
	v_cndmask_b32_e32 v21, v25, v21, vcc_lo
	v_or_b32_e32 v25, 0x1000, v13
	v_cmp_eq_u32_e32 vcc_lo, 0x40f, v26
	v_and_b32_e32 v28, 7, v21
	v_lshrrev_b32_e32 v29, v24, v25
	v_cndmask_b32_e32 v7, v22, v7, vcc_lo
	v_lshrrev_b32_e32 v21, 2, v21
	v_mul_f16_sdwa v22, v62, v30 dst_sel:DWORD dst_unused:UNUSED_PAD src0_sel:WORD_1 src1_sel:DWORD
	v_cmp_lt_i32_e32 vcc_lo, 5, v28
	v_cmp_eq_u32_e64 s0, 3, v28
	v_lshlrev_b32_e32 v24, v24, v29
	v_and_or_b32 v26, 0x8000, v8, v7
	v_and_or_b32 v7, 0x1ff, v18, v17
	v_fmac_f16_e32 v22, v62, v2
	s_or_b32 vcc_lo, s0, vcc_lo
	v_mul_f16_sdwa v2, v62, v2 dst_sel:DWORD dst_unused:UNUSED_PAD src0_sel:WORD_1 src1_sel:DWORD
	v_add_co_ci_u32_e32 v17, vcc_lo, 0, v21, vcc_lo
	v_cmp_ne_u32_e32 vcc_lo, v24, v25
	v_add_nc_u32_e32 v24, 0xfffffc10, v27
	v_cvt_f32_f16_e32 v21, v22
	v_lshrrev_b32_e32 v25, 8, v18
	v_bfe_u32 v27, v18, 20, 11
	v_cndmask_b32_e64 v8, 0, 1, vcc_lo
	v_cmp_ne_u32_e32 vcc_lo, 0, v7
	v_fma_f16 v2, v62, v30, -v2
	v_or_b32_e32 v28, v29, v8
	v_cndmask_b32_e64 v22, 0, 1, vcc_lo
	v_lshl_or_b32 v29, v24, 12, v13
	v_cmp_gt_i32_e32 vcc_lo, 1, v24
	v_cvt_f64_f32_e32 v[7:8], v21
	v_sub_nc_u32_e32 v21, 0x3f1, v27
	v_and_or_b32 v25, 0xffe, v25, v22
	v_cvt_f32_f16_e32 v2, v2
	v_cndmask_b32_e32 v22, v29, v28, vcc_lo
	v_cmp_ne_u32_e32 vcc_lo, 0, v15
	v_med3_i32 v21, v21, 0, 13
	v_or_b32_e32 v28, 0x1000, v25
	v_and_b32_e32 v29, 7, v22
	v_cndmask_b32_e64 v15, 0, 1, vcc_lo
	v_cmp_gt_i32_e32 vcc_lo, 31, v23
	v_lshrrev_b32_e32 v30, v21, v28
	v_lshrrev_b32_e32 v23, 2, v22
	v_cmp_eq_u32_e64 s0, 3, v29
	v_lshl_or_b32 v15, v15, 9, 0x7c00
	v_cndmask_b32_e32 v17, 0x7c00, v17, vcc_lo
	v_cmp_lt_i32_e32 vcc_lo, 5, v29
	v_cndmask_b32_e64 v15, v17, v15, s1
	v_lshlrev_b32_e32 v17, v21, v30
	s_or_b32 vcc_lo, s0, vcc_lo
	v_cvt_f64_f32_e32 v[21:22], v2
	v_add_co_ci_u32_e32 v2, vcc_lo, 0, v23, vcc_lo
	v_cmp_ne_u32_e32 vcc_lo, v17, v28
	v_mul_f64 v[7:8], v[7:8], s[2:3]
	v_add_nc_u32_e32 v23, 0xfffffc10, v27
	v_and_or_b32 v15, 0x8000, v16, v15
	v_and_b32_e32 v16, 0xffff, v26
	v_cndmask_b32_e64 v17, 0, 1, vcc_lo
	v_cmp_ne_u32_e32 vcc_lo, 0, v13
	v_lshl_or_b32 v27, v23, 12, v25
	v_lshl_or_b32 v4, v15, 16, v16
	v_or_b32_e32 v17, v30, v17
	v_cndmask_b32_e64 v13, 0, 1, vcc_lo
	v_cmp_gt_i32_e32 vcc_lo, 31, v24
	v_mul_f16_sdwa v15, v61, v0 dst_sel:DWORD dst_unused:UNUSED_PAD src0_sel:WORD_1 src1_sel:DWORD
	v_lshl_or_b32 v13, v13, 9, 0x7c00
	v_cndmask_b32_e32 v2, 0x7c00, v2, vcc_lo
	v_cmp_gt_i32_e32 vcc_lo, 1, v23
	v_fmac_f16_e32 v15, v61, v1
	v_mul_f16_sdwa v1, v61, v1 dst_sel:DWORD dst_unused:UNUSED_PAD src0_sel:WORD_1 src1_sel:DWORD
	v_cndmask_b32_e32 v17, v27, v17, vcc_lo
	v_cmp_eq_u32_e32 vcc_lo, 0x40f, v24
	v_lshrrev_b32_e32 v3, 8, v8
	v_bfe_u32 v11, v8, 20, 11
	v_and_b32_e32 v26, 7, v17
	v_cndmask_b32_e32 v24, v2, v13, vcc_lo
	v_and_or_b32 v2, 0x1ff, v8, v7
	v_lshrrev_b32_e32 v7, 16, v14
	v_mul_f64 v[13:14], v[21:22], s[2:3]
	v_cmp_lt_i32_e32 vcc_lo, 5, v26
	v_lshrrev_b32_e32 v16, 2, v17
	v_cmp_ne_u32_e64 s0, 0, v2
	v_and_or_b32 v7, 0x8000, v7, v24
	v_lshrrev_b32_e32 v8, 16, v8
	v_cndmask_b32_e64 v2, 0, 1, s0
	v_cmp_eq_u32_e64 s0, 3, v26
	v_and_b32_e32 v7, 0xffff, v7
	v_and_or_b32 v17, 0xffe, v3, v2
	s_or_b32 vcc_lo, s0, vcc_lo
	v_sub_nc_u32_e32 v2, 0x3f1, v11
	v_add_co_ci_u32_e32 v16, vcc_lo, 0, v16, vcc_lo
	v_cmp_ne_u32_e32 vcc_lo, 0, v25
	v_or_b32_e32 v21, 0x1000, v17
	v_med3_i32 v22, v2, 0, 13
	v_cvt_f32_f16_e32 v2, v15
	v_and_or_b32 v13, 0x1ff, v14, v13
	v_cndmask_b32_e64 v15, 0, 1, vcc_lo
	v_cmp_gt_i32_e32 vcc_lo, 31, v23
	v_lshrrev_b32_e32 v25, v22, v21
	v_lshrrev_b32_e32 v26, 8, v14
	v_bfe_u32 v27, v14, 20, 11
	v_cvt_f64_f32_e32 v[2:3], v2
	v_cndmask_b32_e32 v16, 0x7c00, v16, vcc_lo
	v_cmp_ne_u32_e32 vcc_lo, 0, v13
	v_lshlrev_b32_e32 v22, v22, v25
	v_sub_nc_u32_e32 v24, 0x3f1, v27
	v_lshl_or_b32 v15, v15, 9, 0x7c00
	v_add_nc_u32_e32 v11, 0xfffffc10, v11
	v_cndmask_b32_e64 v13, 0, 1, vcc_lo
	v_cmp_ne_u32_e32 vcc_lo, v22, v21
	v_med3_i32 v24, v24, 0, 13
	v_and_or_b32 v13, 0xffe, v26, v13
	v_cndmask_b32_e64 v21, 0, 1, vcc_lo
	v_cmp_eq_u32_e32 vcc_lo, 0x40f, v23
	v_or_b32_e32 v22, 0x1000, v13
	v_cndmask_b32_e32 v15, v16, v15, vcc_lo
	v_lshrrev_b32_e32 v16, 16, v18
	v_or_b32_e32 v18, v25, v21
	v_lshl_or_b32 v21, v11, 12, v17
	v_lshrrev_b32_e32 v23, v24, v22
	v_cmp_gt_i32_e32 vcc_lo, 1, v11
	v_mul_f64 v[2:3], v[2:3], s[2:3]
	v_cndmask_b32_e32 v18, v21, v18, vcc_lo
	v_and_or_b32 v21, 0x8000, v16, v15
	v_lshlrev_b32_e32 v15, v24, v23
	v_fma_f16 v16, v61, v0, -v1
	v_add_co_u32 v0, vcc_lo, v19, s5
	v_and_b32_e32 v24, 7, v18
	v_cmp_ne_u32_e64 s0, v15, v22
	v_add_co_ci_u32_e32 v1, vcc_lo, s4, v20, vcc_lo
	v_cvt_f32_f16_e32 v16, v16
	v_cmp_lt_i32_e32 vcc_lo, 5, v24
	v_cndmask_b32_e64 v19, 0, 1, s0
	v_cmp_eq_u32_e64 s0, 3, v24
	v_lshrrev_b32_e32 v18, 2, v18
	v_cvt_f64_f32_e32 v[15:16], v16
	v_add_nc_u32_e32 v20, 0xfffffc10, v27
	v_or_b32_e32 v19, v23, v19
	s_or_b32 vcc_lo, s0, vcc_lo
	v_and_or_b32 v2, 0x1ff, v3, v2
	v_add_co_ci_u32_e32 v18, vcc_lo, 0, v18, vcc_lo
	v_cmp_ne_u32_e32 vcc_lo, 0, v17
	v_lshl_or_b32 v22, v20, 12, v13
	v_lshl_or_b32 v21, v21, 16, v7
	v_bfe_u32 v23, v3, 20, 11
	global_store_dword v[0:1], v4, off
	v_cndmask_b32_e64 v17, 0, 1, vcc_lo
	v_cmp_gt_i32_e32 vcc_lo, 1, v20
	v_lshl_or_b32 v17, v17, 9, 0x7c00
	v_cndmask_b32_e32 v19, v22, v19, vcc_lo
	v_cmp_gt_i32_e32 vcc_lo, 31, v11
	v_lshrrev_b32_e32 v22, 8, v3
	v_lshrrev_b32_e32 v3, 16, v3
	v_mul_f64 v[15:16], v[15:16], s[2:3]
	v_cndmask_b32_e32 v7, 0x7c00, v18, vcc_lo
	v_cmp_ne_u32_e32 vcc_lo, 0, v2
	v_and_b32_e32 v18, 7, v19
	v_cndmask_b32_e64 v2, 0, 1, vcc_lo
	v_cmp_eq_u32_e32 vcc_lo, 0x40f, v11
	v_cmp_eq_u32_e64 s0, 3, v18
	v_sub_nc_u32_e32 v11, 0x3f1, v23
	v_and_or_b32 v2, 0xffe, v22, v2
	v_cndmask_b32_e32 v7, v7, v17, vcc_lo
	v_cmp_lt_i32_e32 vcc_lo, 5, v18
	v_lshrrev_b32_e32 v18, 2, v19
	v_lshrrev_b32_e32 v17, 16, v6
	v_or_b32_e32 v19, 0x1000, v2
	v_med3_i32 v11, v11, 0, 13
	s_or_b32 vcc_lo, s0, vcc_lo
	v_and_or_b32 v25, 0x8000, v8, v7
	v_add_co_ci_u32_e32 v18, vcc_lo, 0, v18, vcc_lo
	v_cmp_ne_u32_e32 vcc_lo, 0, v13
	v_mul_f16_sdwa v22, v60, v17 dst_sel:DWORD dst_unused:UNUSED_PAD src0_sel:WORD_1 src1_sel:DWORD
	v_and_or_b32 v15, 0x1ff, v16, v15
	v_lshrrev_b32_e32 v24, v11, v19
	v_cndmask_b32_e64 v13, 0, 1, vcc_lo
	v_cmp_gt_i32_e32 vcc_lo, 31, v20
	v_fmac_f16_e32 v22, v60, v6
	v_lshlrev_b32_e32 v11, v11, v24
	v_mul_f16_sdwa v6, v60, v6 dst_sel:DWORD dst_unused:UNUSED_PAD src0_sel:WORD_1 src1_sel:DWORD
	v_lshl_or_b32 v13, v13, 9, 0x7c00
	v_cndmask_b32_e32 v18, 0x7c00, v18, vcc_lo
	v_cmp_eq_u32_e32 vcc_lo, 0x40f, v20
	v_cvt_f32_f16_e32 v22, v22
	v_bfe_u32 v20, v16, 20, 11
	v_cndmask_b32_e32 v18, v18, v13, vcc_lo
	v_cmp_ne_u32_e32 vcc_lo, 0, v15
	v_cvt_f64_f32_e32 v[7:8], v22
	v_lshrrev_b32_e32 v15, 8, v16
	v_lshrrev_b32_e32 v22, 16, v14
	v_cndmask_b32_e64 v13, 0, 1, vcc_lo
	v_cmp_ne_u32_e32 vcc_lo, v11, v19
	v_add_nc_u32_e32 v19, 0xfffffc10, v23
	v_and_or_b32 v18, 0x8000, v22, v18
	v_and_b32_e32 v22, 0xffff, v25
	v_and_or_b32 v15, 0xffe, v15, v13
	v_sub_nc_u32_e32 v13, 0x3f1, v20
	v_cndmask_b32_e64 v11, 0, 1, vcc_lo
	v_lshl_or_b32 v23, v19, 12, v2
	v_lshl_or_b32 v4, v18, 16, v22
	v_lshrrev_b32_e32 v22, 16, v10
	v_med3_i32 v26, v13, 0, 13
	v_add_co_u32 v13, vcc_lo, v0, s5
	v_add_co_ci_u32_e32 v14, vcc_lo, s4, v1, vcc_lo
	v_or_b32_e32 v11, v24, v11
	v_cmp_gt_i32_e32 vcc_lo, 1, v19
	v_or_b32_e32 v24, 0x1000, v15
	v_mul_f64 v[7:8], v[7:8], s[2:3]
	v_fma_f16 v0, v60, v17, -v6
	v_add_nc_u32_e32 v17, 0xfffffc10, v20
	v_cndmask_b32_e32 v11, v23, v11, vcc_lo
	v_lshrrev_b32_e32 v23, v26, v24
	global_store_dword v[13:14], v21, off
	v_cvt_f32_f16_e32 v0, v0
	v_lshl_or_b32 v21, v17, 12, v15
	v_and_b32_e32 v1, 7, v11
	v_lshlrev_b32_e32 v6, v26, v23
	v_lshrrev_b32_e32 v11, 2, v11
	v_cmp_lt_i32_e32 vcc_lo, 5, v1
	v_cmp_eq_u32_e64 s0, 3, v1
	v_cmp_ne_u32_e64 s1, v6, v24
	v_cvt_f64_f32_e32 v[0:1], v0
	s_or_b32 vcc_lo, s0, vcc_lo
	v_cndmask_b32_e64 v6, 0, 1, s1
	v_add_co_ci_u32_e32 v11, vcc_lo, 0, v11, vcc_lo
	v_cmp_ne_u32_e32 vcc_lo, 0, v2
	v_and_or_b32 v20, 0x1ff, v8, v7
	v_or_b32_e32 v18, v23, v6
	v_cmp_eq_u32_e64 s1, 0x40f, v19
	v_mul_f16_sdwa v23, v59, v22 dst_sel:DWORD dst_unused:UNUSED_PAD src0_sel:WORD_1 src1_sel:DWORD
	v_cndmask_b32_e64 v2, 0, 1, vcc_lo
	v_add_co_u32 v6, vcc_lo, v13, s5
	v_add_co_ci_u32_e32 v7, vcc_lo, s4, v14, vcc_lo
	v_cmp_gt_i32_e32 vcc_lo, 1, v17
	v_lshl_or_b32 v2, v2, 9, 0x7c00
	v_fmac_f16_e32 v23, v59, v10
	v_mul_f16_sdwa v10, v59, v10 dst_sel:DWORD dst_unused:UNUSED_PAD src0_sel:WORD_1 src1_sel:DWORD
	global_store_dword v[6:7], v4, off
	v_cndmask_b32_e32 v13, v21, v18, vcc_lo
	v_cmp_gt_i32_e32 vcc_lo, 31, v19
	v_lshrrev_b32_e32 v18, 8, v8
	v_mul_f64 v[0:1], v[0:1], s[2:3]
	v_fma_f16 v4, v59, v22, -v10
	v_and_b32_e32 v21, 7, v13
	v_cndmask_b32_e32 v11, 0x7c00, v11, vcc_lo
	v_cmp_ne_u32_e32 vcc_lo, 0, v20
	v_bfe_u32 v20, v8, 20, 11
	v_cvt_f32_f16_e32 v4, v4
	v_cmp_eq_u32_e64 s0, 3, v21
	v_cndmask_b32_e64 v2, v11, v2, s1
	v_cndmask_b32_e64 v14, 0, 1, vcc_lo
	v_cmp_lt_i32_e32 vcc_lo, 5, v21
	v_lshrrev_b32_e32 v11, 2, v13
	v_cvt_f32_f16_e32 v13, v23
	v_lshrrev_b32_e32 v8, 16, v8
	v_and_or_b32 v18, 0xffe, v18, v14
	v_sub_nc_u32_e32 v14, 0x3f1, v20
	s_or_b32 vcc_lo, s0, vcc_lo
	v_add_nc_u32_e32 v20, 0xfffffc10, v20
	v_add_co_ci_u32_e32 v11, vcc_lo, 0, v11, vcc_lo
	v_or_b32_e32 v21, 0x1000, v18
	v_med3_i32 v14, v14, 0, 13
	v_cmp_ne_u32_e32 vcc_lo, 0, v15
	v_and_or_b32 v0, 0x1ff, v1, v0
	v_bfe_u32 v24, v1, 20, 11
	v_lshrrev_b32_e32 v19, v14, v21
	v_cndmask_b32_e64 v15, 0, 1, vcc_lo
	v_cmp_gt_i32_e32 vcc_lo, 31, v17
	v_lshlrev_b32_e32 v23, v14, v19
	v_cvt_f64_f32_e32 v[13:14], v13
	v_cndmask_b32_e32 v11, 0x7c00, v11, vcc_lo
	v_lshl_or_b32 v15, v15, 9, 0x7c00
	v_cmp_ne_u32_e32 vcc_lo, v23, v21
	v_lshrrev_b32_e32 v23, 8, v1
	v_lshrrev_b32_e32 v1, 16, v1
	v_cndmask_b32_e64 v21, 0, 1, vcc_lo
	v_cmp_ne_u32_e32 vcc_lo, 0, v0
	v_or_b32_e32 v19, v19, v21
	v_cndmask_b32_e64 v0, 0, 1, vcc_lo
	v_cmp_eq_u32_e32 vcc_lo, 0x40f, v17
	v_lshl_or_b32 v21, v20, 12, v18
	v_and_or_b32 v0, 0xffe, v23, v0
	v_sub_nc_u32_e32 v23, 0x3f1, v24
	v_cndmask_b32_e32 v11, v11, v15, vcc_lo
	v_cmp_gt_i32_e32 vcc_lo, 1, v20
	v_lshrrev_b32_e32 v15, 16, v16
	v_or_b32_e32 v17, 0x1000, v0
	v_cndmask_b32_e32 v16, v21, v19, vcc_lo
	v_med3_i32 v19, v23, 0, 13
	v_and_or_b32 v21, 0x8000, v3, v2
	v_mul_f64 v[2:3], v[13:14], s[2:3]
	v_and_or_b32 v11, 0x8000, v15, v11
	v_and_b32_e32 v13, 7, v16
	v_lshrrev_b32_e32 v14, v19, v17
	v_and_b32_e32 v15, 0xffff, v21
	v_lshrrev_b32_e32 v21, 16, v5
	v_cmp_lt_i32_e32 vcc_lo, 5, v13
	v_lshlrev_b32_e32 v10, v19, v14
	v_cmp_eq_u32_e64 s0, 3, v13
	v_lshrrev_b32_e32 v13, 2, v16
	v_lshl_or_b32 v15, v11, 16, v15
	v_cmp_ne_u32_e64 s1, v10, v17
	s_or_b32 vcc_lo, s0, vcc_lo
	v_cvt_f64_f32_e32 v[10:11], v4
	v_add_co_ci_u32_e32 v4, vcc_lo, 0, v13, vcc_lo
	v_cndmask_b32_e64 v16, 0, 1, s1
	v_add_nc_u32_e32 v17, 0xfffffc10, v24
	v_cmp_ne_u32_e32 vcc_lo, 0, v18
	v_and_or_b32 v2, 0x1ff, v3, v2
	v_or_b32_e32 v13, v14, v16
	v_lshl_or_b32 v14, v17, 12, v0
	v_cndmask_b32_e64 v16, 0, 1, vcc_lo
	v_cmp_gt_i32_e32 vcc_lo, 1, v17
	v_bfe_u32 v18, v3, 20, 11
	v_lshl_or_b32 v16, v16, 9, 0x7c00
	v_cndmask_b32_e32 v13, v14, v13, vcc_lo
	v_cmp_ne_u32_e32 vcc_lo, 0, v2
	v_lshrrev_b32_e32 v14, 8, v3
	v_and_b32_e32 v19, 7, v13
	v_cndmask_b32_e64 v2, 0, 1, vcc_lo
	v_cmp_gt_i32_e32 vcc_lo, 31, v20
	v_lshrrev_b32_e32 v13, 2, v13
	v_mul_f64 v[10:11], v[10:11], s[2:3]
	v_cmp_eq_u32_e64 s0, 3, v19
	v_and_or_b32 v22, 0xffe, v14, v2
	v_mul_f16_sdwa v14, v58, v21 dst_sel:DWORD dst_unused:UNUSED_PAD src0_sel:WORD_1 src1_sel:DWORD
	v_cndmask_b32_e32 v4, 0x7c00, v4, vcc_lo
	v_cmp_lt_i32_e32 vcc_lo, 5, v19
	v_sub_nc_u32_e32 v2, 0x3f1, v18
	v_or_b32_e32 v23, 0x1000, v22
	v_fmac_f16_e32 v14, v58, v5
	v_add_nc_u32_e32 v18, 0xfffffc10, v18
	s_or_b32 vcc_lo, s0, vcc_lo
	v_med3_i32 v2, v2, 0, 13
	v_add_co_ci_u32_e32 v24, vcc_lo, 0, v13, vcc_lo
	v_cvt_f32_f16_e32 v14, v14
	v_add_co_u32 v6, vcc_lo, v6, s5
	v_add_co_ci_u32_e32 v7, vcc_lo, s4, v7, vcc_lo
	v_cmp_ne_u32_e32 vcc_lo, 0, v0
	v_cvt_f64_f32_e32 v[13:14], v14
	v_lshrrev_b32_e32 v19, v2, v23
	v_and_or_b32 v10, 0x1ff, v11, v10
	global_store_dword v[6:7], v15, off
	v_cndmask_b32_e64 v0, 0, 1, vcc_lo
	v_cmp_eq_u32_e32 vcc_lo, 0x40f, v20
	v_lshlrev_b32_e32 v2, v2, v19
	v_lshl_or_b32 v0, v0, 9, 0x7c00
	v_cndmask_b32_e32 v4, v4, v16, vcc_lo
	v_cmp_gt_i32_e32 vcc_lo, 31, v17
	v_and_or_b32 v4, 0x8000, v8, v4
	v_cndmask_b32_e32 v16, 0x7c00, v24, vcc_lo
	v_cmp_ne_u32_e32 vcc_lo, v2, v23
	v_and_b32_e32 v4, 0xffff, v4
	v_cndmask_b32_e64 v2, 0, 1, vcc_lo
	v_cmp_eq_u32_e32 vcc_lo, 0x40f, v17
	v_mul_f64 v[13:14], v[13:14], s[2:3]
	v_bfe_u32 v17, v11, 20, 11
	v_or_b32_e32 v2, v19, v2
	v_cndmask_b32_e32 v0, v16, v0, vcc_lo
	v_cmp_ne_u32_e32 vcc_lo, 0, v10
	v_lshrrev_b32_e32 v16, 8, v11
	v_lshl_or_b32 v19, v18, 12, v22
	v_lshrrev_b32_e32 v11, 16, v11
	v_and_or_b32 v0, 0x8000, v1, v0
	v_cndmask_b32_e64 v10, 0, 1, vcc_lo
	v_cmp_gt_i32_e32 vcc_lo, 1, v18
	v_and_or_b32 v8, 0xffe, v16, v10
	v_sub_nc_u32_e32 v10, 0x3f1, v17
	v_cndmask_b32_e32 v16, v19, v2, vcc_lo
	v_mul_f16_sdwa v2, v58, v5 dst_sel:DWORD dst_unused:UNUSED_PAD src0_sel:WORD_1 src1_sel:DWORD
	v_add_nc_u32_e32 v17, 0xfffffc10, v17
	v_or_b32_e32 v19, 0x1000, v8
	v_med3_i32 v1, v10, 0, 13
	v_and_or_b32 v13, 0x1ff, v14, v13
	v_fma_f16 v15, v58, v21, -v2
	v_and_b32_e32 v5, 7, v16
	v_lshl_or_b32 v2, v0, 16, v4
	v_lshrrev_b32_e32 v10, v1, v19
	v_add_co_u32 v0, s1, v6, s5
	v_cvt_f32_f16_e32 v4, v15
	v_cmp_lt_i32_e32 vcc_lo, 5, v5
	v_lshlrev_b32_e32 v20, v1, v10
	v_add_co_ci_u32_e64 v1, s1, s4, v7, s1
	v_cmp_ne_u32_e64 s1, 0, v13
	v_cmp_eq_u32_e64 s0, 3, v5
	v_cvt_f64_f32_e32 v[4:5], v4
	v_lshrrev_b32_e32 v6, 2, v16
	v_lshrrev_b32_e32 v13, 8, v14
	v_cndmask_b32_e64 v7, 0, 1, s1
	v_cmp_ne_u32_e64 s1, v20, v19
	v_bfe_u32 v15, v14, 20, 11
	s_or_b32 vcc_lo, s0, vcc_lo
	v_lshrrev_b32_e32 v20, 16, v9
	v_add_co_ci_u32_e32 v6, vcc_lo, 0, v6, vcc_lo
	v_cndmask_b32_e64 v16, 0, 1, s1
	v_and_or_b32 v13, 0xffe, v13, v7
	v_sub_nc_u32_e32 v7, 0x3f1, v15
	v_cmp_gt_i32_e32 vcc_lo, 1, v17
	v_cmp_eq_u32_e64 s1, 0x40f, v18
	v_or_b32_e32 v10, v10, v16
	v_lshl_or_b32 v16, v17, 12, v8
	v_or_b32_e32 v19, 0x1000, v13
	v_med3_i32 v7, v7, 0, 13
	v_add_nc_u32_e32 v15, 0xfffffc10, v15
	v_lshrrev_b32_e32 v14, 16, v14
	v_cndmask_b32_e32 v10, v16, v10, vcc_lo
	v_cmp_ne_u32_e32 vcc_lo, 0, v22
	v_mul_f64 v[4:5], v[4:5], s[2:3]
	v_lshrrev_b32_e32 v21, v7, v19
	v_mul_f16_sdwa v22, v57, v20 dst_sel:DWORD dst_unused:UNUSED_PAD src0_sel:WORD_1 src1_sel:DWORD
	v_and_b32_e32 v23, 7, v10
	v_cndmask_b32_e64 v16, 0, 1, vcc_lo
	v_cmp_gt_i32_e32 vcc_lo, 31, v18
	v_lshlrev_b32_e32 v7, v7, v21
	v_fmac_f16_e32 v22, v57, v9
	v_cmp_eq_u32_e64 s0, 3, v23
	v_lshl_or_b32 v16, v16, 9, 0x7c00
	v_cndmask_b32_e32 v6, 0x7c00, v6, vcc_lo
	v_cmp_lt_i32_e32 vcc_lo, 5, v23
	v_lshrrev_b32_e32 v10, 2, v10
	v_mul_f16_sdwa v9, v57, v9 dst_sel:DWORD dst_unused:UNUSED_PAD src0_sel:WORD_1 src1_sel:DWORD
	v_cndmask_b32_e64 v16, v6, v16, s1
	v_cmp_ne_u32_e64 s1, v7, v19
	v_cvt_f32_f16_e32 v6, v22
	s_or_b32 vcc_lo, s0, vcc_lo
	v_lshl_or_b32 v19, v15, 12, v13
	v_add_co_ci_u32_e32 v10, vcc_lo, 0, v10, vcc_lo
	v_cndmask_b32_e64 v18, 0, 1, s1
	v_cmp_ne_u32_e32 vcc_lo, 0, v8
	v_cvt_f64_f32_e32 v[6:7], v6
	v_and_or_b32 v4, 0x1ff, v5, v4
	v_fma_f16 v9, v57, v20, -v9
	v_or_b32_e32 v18, v21, v18
	v_lshrrev_b32_e32 v21, 16, v3
	v_cndmask_b32_e64 v3, 0, 1, vcc_lo
	v_cmp_gt_i32_e32 vcc_lo, 1, v15
	v_and_or_b32 v16, 0x8000, v21, v16
	v_lshl_or_b32 v22, v3, 9, 0x7c00
	v_cndmask_b32_e32 v8, v19, v18, vcc_lo
	v_cmp_ne_u32_e32 vcc_lo, 0, v4
	v_lshrrev_b32_e32 v18, 8, v5
	v_bfe_u32 v19, v5, 20, 11
	v_and_b32_e32 v23, 7, v8
	v_cndmask_b32_e64 v4, 0, 1, vcc_lo
	v_cmp_gt_i32_e32 vcc_lo, 31, v17
	v_sub_nc_u32_e32 v24, 0x3f1, v19
	v_lshrrev_b32_e32 v8, 2, v8
	v_cmp_eq_u32_e64 s0, 3, v23
	v_and_or_b32 v18, 0xffe, v18, v4
	v_cndmask_b32_e32 v10, 0x7c00, v10, vcc_lo
	v_cmp_eq_u32_e32 vcc_lo, 0x40f, v17
	v_mul_f64 v[3:4], v[6:7], s[2:3]
	v_add_nc_u32_e32 v19, 0xfffffc10, v19
	v_or_b32_e32 v7, 0x1000, v18
	v_cndmask_b32_e32 v6, v10, v22, vcc_lo
	v_med3_i32 v10, v24, 0, 13
	v_cmp_lt_i32_e32 vcc_lo, 5, v23
	v_and_or_b32 v6, 0x8000, v11, v6
	v_lshrrev_b32_e32 v17, v10, v7
	s_or_b32 vcc_lo, s0, vcc_lo
	v_and_b32_e32 v11, 0xffff, v16
	v_add_co_ci_u32_e32 v8, vcc_lo, 0, v8, vcc_lo
	v_lshlrev_b32_e32 v10, v10, v17
	v_cmp_ne_u32_e32 vcc_lo, 0, v13
	v_lshl_or_b32 v16, v6, 16, v11
	v_cvt_f32_f16_e32 v6, v9
	v_cndmask_b32_e64 v13, 0, 1, vcc_lo
	v_cmp_ne_u32_e32 vcc_lo, v10, v7
	v_and_or_b32 v3, 0x1ff, v4, v3
	v_lshrrev_b32_e32 v11, 8, v4
	v_bfe_u32 v20, v4, 20, 11
	v_cvt_f64_f32_e32 v[6:7], v6
	v_cndmask_b32_e64 v9, 0, 1, vcc_lo
	v_cmp_gt_i32_e32 vcc_lo, 31, v15
	v_lshrrev_b32_e32 v10, 16, v12
	v_lshrrev_b32_e32 v4, 16, v4
	v_or_b32_e32 v9, v17, v9
	v_cndmask_b32_e32 v8, 0x7c00, v8, vcc_lo
	v_cmp_ne_u32_e32 vcc_lo, 0, v3
	v_lshl_or_b32 v17, v19, 12, v18
	v_mul_f16_sdwa v21, v56, v10 dst_sel:DWORD dst_unused:UNUSED_PAD src0_sel:WORD_1 src1_sel:DWORD
	v_cndmask_b32_e64 v3, 0, 1, vcc_lo
	v_cmp_gt_i32_e32 vcc_lo, 1, v19
	v_fmac_f16_e32 v21, v56, v12
	v_mul_f16_sdwa v12, v56, v12 dst_sel:DWORD dst_unused:UNUSED_PAD src0_sel:WORD_1 src1_sel:DWORD
	v_and_or_b32 v3, 0xffe, v11, v3
	v_sub_nc_u32_e32 v11, 0x3f1, v20
	v_cndmask_b32_e32 v17, v17, v9, vcc_lo
	v_lshl_or_b32 v9, v13, 9, 0x7c00
	v_cmp_eq_u32_e32 vcc_lo, 0x40f, v15
	v_or_b32_e32 v13, 0x1000, v3
	v_med3_i32 v11, v11, 0, 13
	v_and_b32_e32 v22, 7, v17
	v_cvt_f32_f16_e32 v21, v21
	v_cndmask_b32_e32 v15, v8, v9, vcc_lo
	v_lshrrev_b32_e32 v17, 2, v17
	v_lshrrev_b32_e32 v23, v11, v13
	v_cmp_lt_i32_e32 vcc_lo, 5, v22
	v_cmp_eq_u32_e64 s0, 3, v22
	v_cvt_f64_f32_e32 v[8:9], v21
	v_fma_f16 v10, v56, v10, -v12
	v_lshlrev_b32_e32 v11, v11, v23
	v_mul_f64 v[6:7], v[6:7], s[2:3]
	s_or_b32 vcc_lo, s0, vcc_lo
	v_and_or_b32 v14, 0x8000, v14, v15
	v_add_co_ci_u32_e32 v12, vcc_lo, 0, v17, vcc_lo
	v_cmp_ne_u32_e32 vcc_lo, v11, v13
	v_add_nc_u32_e32 v17, 0xfffffc10, v20
	v_cvt_f32_f16_e32 v10, v10
	v_and_b32_e32 v14, 0xffff, v14
	v_cndmask_b32_e64 v11, 0, 1, vcc_lo
	v_cmp_ne_u32_e32 vcc_lo, 0, v18
	v_lshl_or_b32 v20, v17, 12, v3
	v_or_b32_e32 v18, v23, v11
	v_cndmask_b32_e64 v13, 0, 1, vcc_lo
	v_cmp_gt_i32_e32 vcc_lo, 31, v19
	v_cvt_f64_f32_e32 v[10:11], v10
	v_mul_f64 v[8:9], v[8:9], s[2:3]
	v_lshl_or_b32 v22, v13, 9, 0x7c00
	v_cndmask_b32_e32 v21, 0x7c00, v12, vcc_lo
	v_add_co_u32 v12, vcc_lo, v0, s5
	v_add_co_ci_u32_e32 v13, vcc_lo, s4, v1, vcc_lo
	v_cmp_gt_i32_e32 vcc_lo, 1, v17
	v_and_or_b32 v6, 0x1ff, v7, v6
	v_cndmask_b32_e32 v18, v20, v18, vcc_lo
	v_cmp_eq_u32_e32 vcc_lo, 0x40f, v19
	v_lshrrev_b32_e32 v20, 8, v7
	v_and_b32_e32 v23, 7, v18
	v_cndmask_b32_e32 v19, v21, v22, vcc_lo
	v_cmp_ne_u32_e32 vcc_lo, 0, v6
	v_bfe_u32 v21, v7, 20, 11
	v_lshrrev_b32_e32 v22, 16, v5
	v_cmp_eq_u32_e64 s0, 3, v23
	v_lshrrev_b32_e32 v18, 2, v18
	v_cndmask_b32_e64 v6, 0, 1, vcc_lo
	v_cmp_lt_i32_e32 vcc_lo, 5, v23
	v_and_or_b32 v8, 0x1ff, v9, v8
	v_bfe_u32 v23, v9, 20, 11
	v_lshrrev_b32_e32 v7, 16, v7
	v_and_or_b32 v15, 0xffe, v20, v6
	v_sub_nc_u32_e32 v20, 0x3f1, v21
	v_mul_f64 v[5:6], v[10:11], s[2:3]
	v_and_or_b32 v10, 0x8000, v22, v19
	s_or_b32 vcc_lo, s0, vcc_lo
	v_or_b32_e32 v11, 0x1000, v15
	v_med3_i32 v19, v20, 0, 13
	v_add_co_ci_u32_e32 v18, vcc_lo, 0, v18, vcc_lo
	v_cmp_ne_u32_e32 vcc_lo, 0, v8
	v_lshrrev_b32_e32 v22, 8, v9
	v_lshrrev_b32_e32 v20, v19, v11
	;; [unrolled: 1-line block ×3, first 2 shown]
	v_lshl_or_b32 v10, v10, 16, v14
	v_cndmask_b32_e64 v8, 0, 1, vcc_lo
	v_cmp_ne_u32_e32 vcc_lo, 0, v3
	v_lshlrev_b32_e32 v19, v19, v20
	v_and_or_b32 v8, 0xffe, v22, v8
	v_cndmask_b32_e64 v3, 0, 1, vcc_lo
	v_cmp_ne_u32_e32 vcc_lo, v19, v11
	v_sub_nc_u32_e32 v22, 0x3f1, v23
	v_add_nc_u32_e32 v19, 0xfffffc10, v21
	v_and_or_b32 v5, 0x1ff, v6, v5
	v_or_b32_e32 v21, 0x1000, v8
	v_cndmask_b32_e64 v11, 0, 1, vcc_lo
	v_cmp_gt_i32_e32 vcc_lo, 31, v17
	v_med3_i32 v22, v22, 0, 13
	v_lshrrev_b32_e32 v24, 8, v6
	v_bfe_u32 v25, v6, 20, 11
	v_or_b32_e32 v11, v20, v11
	v_cndmask_b32_e32 v18, 0x7c00, v18, vcc_lo
	v_cmp_ne_u32_e32 vcc_lo, 0, v5
	v_lshl_or_b32 v20, v19, 12, v15
	v_lshrrev_b32_e32 v26, v22, v21
	v_lshl_or_b32 v3, v3, 9, 0x7c00
	v_lshrrev_b32_e32 v6, 16, v6
	v_cndmask_b32_e64 v5, 0, 1, vcc_lo
	v_cmp_gt_i32_e32 vcc_lo, 1, v19
	v_and_or_b32 v5, 0xffe, v24, v5
	v_sub_nc_u32_e32 v24, 0x3f1, v25
	v_cndmask_b32_e32 v11, v20, v11, vcc_lo
	v_lshlrev_b32_e32 v20, v22, v26
	v_cmp_eq_u32_e32 vcc_lo, 0x40f, v17
	v_or_b32_e32 v22, 0x1000, v5
	v_med3_i32 v24, v24, 0, 13
	v_and_b32_e32 v27, 7, v11
	v_lshrrev_b32_e32 v11, 2, v11
	v_cndmask_b32_e32 v3, v18, v3, vcc_lo
	v_cmp_ne_u32_e32 vcc_lo, v20, v21
	v_add_nc_u32_e32 v18, 0xfffffc10, v23
	v_lshrrev_b32_e32 v20, v24, v22
	v_cmp_eq_u32_e64 s0, 3, v27
	v_and_or_b32 v3, 0x8000, v4, v3
	v_cndmask_b32_e64 v17, 0, 1, vcc_lo
	v_lshl_or_b32 v21, v18, 12, v8
	v_lshlrev_b32_e32 v23, v24, v20
	v_cmp_gt_i32_e64 s1, 1, v18
	v_cmp_lt_i32_e32 vcc_lo, 5, v27
	v_or_b32_e32 v17, v26, v17
	s_or_b32 vcc_lo, s0, vcc_lo
	v_cndmask_b32_e64 v17, v21, v17, s1
	v_cmp_ne_u32_e64 s1, v23, v22
	v_add_nc_u32_e32 v22, 0xfffffc10, v25
	v_add_co_ci_u32_e32 v11, vcc_lo, 0, v11, vcc_lo
	v_and_b32_e32 v23, 7, v17
	v_cndmask_b32_e64 v21, 0, 1, s1
	v_cmp_ne_u32_e32 vcc_lo, 0, v15
	v_cmp_gt_i32_e64 s0, 1, v22
	v_lshrrev_b32_e32 v17, 2, v17
	v_cmp_gt_i32_e64 s1, 31, v19
	v_or_b32_e32 v20, v20, v21
	v_lshl_or_b32 v21, v22, 12, v5
	v_cndmask_b32_e64 v15, 0, 1, vcc_lo
	v_cmp_lt_i32_e32 vcc_lo, 5, v23
	v_cndmask_b32_e64 v11, 0x7c00, v11, s1
	v_cmp_eq_u32_e64 s1, 0x40f, v19
	v_cndmask_b32_e64 v4, v21, v20, s0
	v_cmp_eq_u32_e64 s0, 3, v23
	v_lshl_or_b32 v15, v15, 9, 0x7c00
	v_and_b32_e32 v20, 7, v4
	s_or_b32 vcc_lo, s0, vcc_lo
	v_lshrrev_b32_e32 v4, 2, v4
	v_add_co_ci_u32_e32 v17, vcc_lo, 0, v17, vcc_lo
	v_cmp_ne_u32_e32 vcc_lo, 0, v8
	v_cmp_eq_u32_e64 s0, 3, v20
	v_cndmask_b32_e64 v11, v11, v15, s1
	v_cmp_gt_i32_e64 s1, 31, v18
	v_cndmask_b32_e64 v8, 0, 1, vcc_lo
	v_cmp_lt_i32_e32 vcc_lo, 5, v20
	v_and_or_b32 v7, 0x8000, v7, v11
	v_cndmask_b32_e64 v15, 0x7c00, v17, s1
	v_and_b32_e32 v11, 0xffff, v3
	v_lshl_or_b32 v8, v8, 9, 0x7c00
	s_or_b32 vcc_lo, s0, vcc_lo
	v_add_co_ci_u32_e32 v4, vcc_lo, 0, v4, vcc_lo
	v_cmp_ne_u32_e32 vcc_lo, 0, v5
	v_cndmask_b32_e64 v5, 0, 1, vcc_lo
	v_cmp_eq_u32_e32 vcc_lo, 0x40f, v18
	v_lshl_or_b32 v5, v5, 9, 0x7c00
	v_cndmask_b32_e32 v8, v15, v8, vcc_lo
	v_cmp_gt_i32_e32 vcc_lo, 31, v22
	v_and_or_b32 v8, 0x8000, v9, v8
	v_cndmask_b32_e32 v4, 0x7c00, v4, vcc_lo
	v_cmp_eq_u32_e32 vcc_lo, 0x40f, v22
	v_lshl_or_b32 v9, v7, 16, v11
	v_and_b32_e32 v8, 0xffff, v8
	v_cndmask_b32_e32 v5, v4, v5, vcc_lo
	v_add_co_u32 v3, vcc_lo, v12, s5
	v_add_co_ci_u32_e32 v4, vcc_lo, s4, v13, vcc_lo
	v_and_or_b32 v7, 0x8000, v6, v5
	v_add_co_u32 v5, vcc_lo, v3, s5
	v_add_co_ci_u32_e32 v6, vcc_lo, s4, v4, vcc_lo
	v_lshl_or_b32 v11, v7, 16, v8
	v_add_co_u32 v7, vcc_lo, v5, s5
	v_add_co_ci_u32_e32 v8, vcc_lo, s4, v6, vcc_lo
	global_store_dword v[0:1], v2, off
	global_store_dword v[12:13], v16, off
	;; [unrolled: 1-line block ×5, first 2 shown]
.LBB0_2:
	s_endpgm
	.section	.rodata,"a",@progbits
	.p2align	6, 0x0
	.amdhsa_kernel bluestein_single_fwd_len4000_dim1_half_op_CI_CI
		.amdhsa_group_segment_fixed_size 16000
		.amdhsa_private_segment_fixed_size 0
		.amdhsa_kernarg_size 104
		.amdhsa_user_sgpr_count 6
		.amdhsa_user_sgpr_private_segment_buffer 1
		.amdhsa_user_sgpr_dispatch_ptr 0
		.amdhsa_user_sgpr_queue_ptr 0
		.amdhsa_user_sgpr_kernarg_segment_ptr 1
		.amdhsa_user_sgpr_dispatch_id 0
		.amdhsa_user_sgpr_flat_scratch_init 0
		.amdhsa_user_sgpr_private_segment_size 0
		.amdhsa_wavefront_size32 1
		.amdhsa_uses_dynamic_stack 0
		.amdhsa_system_sgpr_private_segment_wavefront_offset 0
		.amdhsa_system_sgpr_workgroup_id_x 1
		.amdhsa_system_sgpr_workgroup_id_y 0
		.amdhsa_system_sgpr_workgroup_id_z 0
		.amdhsa_system_sgpr_workgroup_info 0
		.amdhsa_system_vgpr_workitem_id 0
		.amdhsa_next_free_vgpr 181
		.amdhsa_next_free_sgpr 20
		.amdhsa_reserve_vcc 1
		.amdhsa_reserve_flat_scratch 0
		.amdhsa_float_round_mode_32 0
		.amdhsa_float_round_mode_16_64 0
		.amdhsa_float_denorm_mode_32 3
		.amdhsa_float_denorm_mode_16_64 3
		.amdhsa_dx10_clamp 1
		.amdhsa_ieee_mode 1
		.amdhsa_fp16_overflow 0
		.amdhsa_workgroup_processor_mode 1
		.amdhsa_memory_ordered 1
		.amdhsa_forward_progress 0
		.amdhsa_shared_vgpr_count 0
		.amdhsa_exception_fp_ieee_invalid_op 0
		.amdhsa_exception_fp_denorm_src 0
		.amdhsa_exception_fp_ieee_div_zero 0
		.amdhsa_exception_fp_ieee_overflow 0
		.amdhsa_exception_fp_ieee_underflow 0
		.amdhsa_exception_fp_ieee_inexact 0
		.amdhsa_exception_int_div_zero 0
	.end_amdhsa_kernel
	.text
.Lfunc_end0:
	.size	bluestein_single_fwd_len4000_dim1_half_op_CI_CI, .Lfunc_end0-bluestein_single_fwd_len4000_dim1_half_op_CI_CI
                                        ; -- End function
	.section	.AMDGPU.csdata,"",@progbits
; Kernel info:
; codeLenInByte = 33072
; NumSgprs: 22
; NumVgprs: 181
; ScratchSize: 0
; MemoryBound: 0
; FloatMode: 240
; IeeeMode: 1
; LDSByteSize: 16000 bytes/workgroup (compile time only)
; SGPRBlocks: 2
; VGPRBlocks: 22
; NumSGPRsForWavesPerEU: 22
; NumVGPRsForWavesPerEU: 181
; Occupancy: 5
; WaveLimiterHint : 1
; COMPUTE_PGM_RSRC2:SCRATCH_EN: 0
; COMPUTE_PGM_RSRC2:USER_SGPR: 6
; COMPUTE_PGM_RSRC2:TRAP_HANDLER: 0
; COMPUTE_PGM_RSRC2:TGID_X_EN: 1
; COMPUTE_PGM_RSRC2:TGID_Y_EN: 0
; COMPUTE_PGM_RSRC2:TGID_Z_EN: 0
; COMPUTE_PGM_RSRC2:TIDIG_COMP_CNT: 0
	.text
	.p2alignl 6, 3214868480
	.fill 48, 4, 3214868480
	.type	__hip_cuid_e69f0dcbf00b31ee,@object ; @__hip_cuid_e69f0dcbf00b31ee
	.section	.bss,"aw",@nobits
	.globl	__hip_cuid_e69f0dcbf00b31ee
__hip_cuid_e69f0dcbf00b31ee:
	.byte	0                               ; 0x0
	.size	__hip_cuid_e69f0dcbf00b31ee, 1

	.ident	"AMD clang version 19.0.0git (https://github.com/RadeonOpenCompute/llvm-project roc-6.4.0 25133 c7fe45cf4b819c5991fe208aaa96edf142730f1d)"
	.section	".note.GNU-stack","",@progbits
	.addrsig
	.addrsig_sym __hip_cuid_e69f0dcbf00b31ee
	.amdgpu_metadata
---
amdhsa.kernels:
  - .args:
      - .actual_access:  read_only
        .address_space:  global
        .offset:         0
        .size:           8
        .value_kind:     global_buffer
      - .actual_access:  read_only
        .address_space:  global
        .offset:         8
        .size:           8
        .value_kind:     global_buffer
      - .actual_access:  read_only
        .address_space:  global
        .offset:         16
        .size:           8
        .value_kind:     global_buffer
      - .actual_access:  read_only
        .address_space:  global
        .offset:         24
        .size:           8
        .value_kind:     global_buffer
      - .actual_access:  read_only
        .address_space:  global
        .offset:         32
        .size:           8
        .value_kind:     global_buffer
      - .offset:         40
        .size:           8
        .value_kind:     by_value
      - .address_space:  global
        .offset:         48
        .size:           8
        .value_kind:     global_buffer
      - .address_space:  global
        .offset:         56
        .size:           8
        .value_kind:     global_buffer
      - .address_space:  global
        .offset:         64
        .size:           8
        .value_kind:     global_buffer
      - .address_space:  global
        .offset:         72
        .size:           8
        .value_kind:     global_buffer
      - .offset:         80
        .size:           4
        .value_kind:     by_value
      - .address_space:  global
        .offset:         88
        .size:           8
        .value_kind:     global_buffer
      - .address_space:  global
        .offset:         96
        .size:           8
        .value_kind:     global_buffer
    .group_segment_fixed_size: 16000
    .kernarg_segment_align: 8
    .kernarg_segment_size: 104
    .language:       OpenCL C
    .language_version:
      - 2
      - 0
    .max_flat_workgroup_size: 200
    .name:           bluestein_single_fwd_len4000_dim1_half_op_CI_CI
    .private_segment_fixed_size: 0
    .sgpr_count:     22
    .sgpr_spill_count: 0
    .symbol:         bluestein_single_fwd_len4000_dim1_half_op_CI_CI.kd
    .uniform_work_group_size: 1
    .uses_dynamic_stack: false
    .vgpr_count:     181
    .vgpr_spill_count: 0
    .wavefront_size: 32
    .workgroup_processor_mode: 1
amdhsa.target:   amdgcn-amd-amdhsa--gfx1030
amdhsa.version:
  - 1
  - 2
...

	.end_amdgpu_metadata
